;; amdgpu-corpus repo=ROCm/rocFFT kind=compiled arch=gfx1201 opt=O3
	.text
	.amdgcn_target "amdgcn-amd-amdhsa--gfx1201"
	.amdhsa_code_object_version 6
	.protected	bluestein_single_fwd_len1183_dim1_sp_op_CI_CI ; -- Begin function bluestein_single_fwd_len1183_dim1_sp_op_CI_CI
	.globl	bluestein_single_fwd_len1183_dim1_sp_op_CI_CI
	.p2align	8
	.type	bluestein_single_fwd_len1183_dim1_sp_op_CI_CI,@function
bluestein_single_fwd_len1183_dim1_sp_op_CI_CI: ; @bluestein_single_fwd_len1183_dim1_sp_op_CI_CI
; %bb.0:
	s_load_b128 s[12:15], s[0:1], 0x28
	v_mul_u32_u24_e32 v1, 0x2d1, v0
	v_mov_b32_e32 v75, 0
	s_mov_b32 s2, exec_lo
	s_delay_alu instid0(VALU_DEP_2) | instskip(NEXT) | instid1(VALU_DEP_1)
	v_lshrrev_b32_e32 v2, 16, v1
	v_lshl_add_u32 v74, ttmp9, 1, v2
	s_wait_kmcnt 0x0
	s_delay_alu instid0(VALU_DEP_1)
	v_cmpx_gt_u64_e64 s[12:13], v[74:75]
	s_cbranch_execz .LBB0_15
; %bb.1:
	s_clause 0x1
	s_load_b128 s[4:7], s[0:1], 0x18
	s_load_b64 s[12:13], s[0:1], 0x0
	v_mul_lo_u16 v1, 0x5b, v2
	s_delay_alu instid0(VALU_DEP_1)
	v_sub_nc_u16 v23, v0, v1
	s_wait_kmcnt 0x0
	s_load_b128 s[8:11], s[4:5], 0x0
	s_wait_kmcnt 0x0
	v_mad_co_u64_u32 v[0:1], null, s10, v74, 0
	s_mul_u64 s[2:3], s[8:9], 0xa9
	s_delay_alu instid0(VALU_DEP_1) | instskip(NEXT) | instid1(VALU_DEP_1)
	v_mad_co_u64_u32 v[5:6], null, s11, v74, v[1:2]
	v_dual_mov_b32 v1, v5 :: v_dual_and_b32 v94, 0xffff, v23
	s_delay_alu instid0(VALU_DEP_1)
	v_mad_co_u64_u32 v[3:4], null, s8, v94, 0
	v_lshlrev_b32_e32 v60, 3, v94
	s_clause 0x3
	global_load_b64 v[81:82], v60, s[12:13]
	global_load_b64 v[83:84], v60, s[12:13] offset:1352
	global_load_b64 v[75:76], v60, s[12:13] offset:2704
	;; [unrolled: 1-line block ×3, first 2 shown]
	v_mad_co_u64_u32 v[6:7], null, s9, v94, v[4:5]
	v_lshlrev_b64_e32 v[0:1], 3, v[0:1]
	s_delay_alu instid0(VALU_DEP_1) | instskip(NEXT) | instid1(VALU_DEP_3)
	v_add_co_u32 v0, vcc_lo, s14, v0
	v_mov_b32_e32 v4, v6
	s_delay_alu instid0(VALU_DEP_3) | instskip(SKIP_1) | instid1(VALU_DEP_2)
	v_add_co_ci_u32_e32 v1, vcc_lo, s15, v1, vcc_lo
	s_lshl_b64 s[14:15], s[2:3], 3
	v_lshlrev_b64_e32 v[3:4], 3, v[3:4]
	s_delay_alu instid0(VALU_DEP_1) | instskip(SKIP_1) | instid1(VALU_DEP_2)
	v_add_co_u32 v0, vcc_lo, v0, v3
	s_wait_alu 0xfffd
	v_add_co_ci_u32_e32 v1, vcc_lo, v1, v4, vcc_lo
	s_wait_alu 0xfffe
	s_delay_alu instid0(VALU_DEP_2) | instskip(SKIP_1) | instid1(VALU_DEP_2)
	v_add_co_u32 v3, vcc_lo, v0, s14
	s_wait_alu 0xfffd
	v_add_co_ci_u32_e32 v4, vcc_lo, s15, v1, vcc_lo
	global_load_b64 v[7:8], v[0:1], off
	v_add_co_u32 v5, vcc_lo, v3, s14
	global_load_b64 v[9:10], v[3:4], off
	s_wait_alu 0xfffd
	v_add_co_ci_u32_e32 v6, vcc_lo, s15, v4, vcc_lo
	v_add_co_u32 v0, vcc_lo, v5, s14
	s_wait_alu 0xfffd
	s_delay_alu instid0(VALU_DEP_2) | instskip(NEXT) | instid1(VALU_DEP_2)
	v_add_co_ci_u32_e32 v1, vcc_lo, s15, v6, vcc_lo
	v_add_co_u32 v3, vcc_lo, v0, s14
	s_wait_alu 0xfffd
	s_delay_alu instid0(VALU_DEP_2) | instskip(NEXT) | instid1(VALU_DEP_2)
	v_add_co_ci_u32_e32 v4, vcc_lo, s15, v1, vcc_lo
	v_add_co_u32 v13, vcc_lo, v3, s14
	s_wait_alu 0xfffd
	s_delay_alu instid0(VALU_DEP_2)
	v_add_co_ci_u32_e32 v14, vcc_lo, s15, v4, vcc_lo
	s_wait_loadcnt 0x0
	v_dual_mul_f32 v19, v8, v82 :: v_dual_mul_f32 v22, v9, v84
	v_mul_f32_e32 v21, v10, v84
	global_load_b64 v[79:80], v60, s[12:13] offset:5408
	s_clause 0x2
	global_load_b64 v[5:6], v[5:6], off
	global_load_b64 v[11:12], v[0:1], off
	;; [unrolled: 1-line block ×3, first 2 shown]
	v_add_co_u32 v0, vcc_lo, v13, s14
	s_wait_alu 0xfffd
	v_add_co_ci_u32_e32 v1, vcc_lo, s15, v14, vcc_lo
	global_load_b64 v[13:14], v[13:14], off
	s_clause 0x1
	global_load_b64 v[85:86], v60, s[12:13] offset:6760
	global_load_b64 v[87:88], v60, s[12:13] offset:8112
	global_load_b64 v[17:18], v[0:1], off
	v_dual_fmac_f32 v19, v7, v81 :: v_dual_and_b32 v2, 1, v2
	v_mul_f32_e32 v4, v7, v82
	s_load_b64 s[10:11], s[0:1], 0x38
	s_load_b128 s[4:7], s[6:7], 0x0
	v_fma_f32 v22, v10, v83, -v22
	v_cmp_eq_u32_e32 vcc_lo, 1, v2
	v_add_co_u32 v72, s2, s12, v60
	v_fma_f32 v20, v8, v81, -v4
	v_add_co_ci_u32_e64 v73, null, s13, 0, s2
	s_wait_alu 0xfffd
	v_cndmask_b32_e64 v2, 0, 0x49f, vcc_lo
	v_cmp_gt_u16_e32 vcc_lo, 0x4e, v23
	v_fmac_f32_e32 v21, v9, v83
	s_wait_loadcnt 0x6
	s_delay_alu instid0(VALU_DEP_3) | instskip(SKIP_2) | instid1(VALU_DEP_2)
	v_dual_mul_f32 v4, v6, v76 :: v_dual_lshlrev_b32 v95, 3, v2
	s_wait_loadcnt 0x5
	v_mul_f32_e32 v7, v12, v78
	v_add_nc_u32_e32 v93, v95, v60
	v_mul_f32_e32 v8, v5, v76
	s_wait_loadcnt 0x4
	v_dual_mul_f32 v10, v11, v78 :: v_dual_mul_f32 v9, v16, v80
	v_fmac_f32_e32 v4, v5, v75
	v_add_nc_u32_e32 v2, 0x800, v93
	v_fmac_f32_e32 v7, v11, v77
	v_fma_f32 v5, v6, v75, -v8
	v_fma_f32 v8, v12, v77, -v10
	s_wait_loadcnt 0x2
	v_dual_mul_f32 v6, v15, v80 :: v_dual_mul_f32 v11, v14, v86
	v_dual_fmac_f32 v9, v15, v79 :: v_dual_mul_f32 v12, v13, v86
	s_wait_loadcnt 0x0
	v_mul_f32_e32 v15, v18, v88
	v_dual_mul_f32 v24, v17, v88 :: v_dual_add_nc_u32 v3, 0x1400, v93
	v_fma_f32 v10, v16, v79, -v6
	v_fmac_f32_e32 v11, v13, v85
	v_fma_f32 v12, v14, v85, -v12
	v_fmac_f32_e32 v15, v17, v87
	v_fma_f32 v16, v18, v87, -v24
	ds_store_2addr_b64 v93, v[19:20], v[21:22] offset1:169
	ds_store_2addr_b64 v2, v[4:5], v[7:8] offset0:82 offset1:251
	ds_store_2addr_b64 v3, v[9:10], v[11:12] offset0:36 offset1:205
	ds_store_b64 v93, v[15:16] offset:8112
	s_and_saveexec_b32 s3, vcc_lo
	s_cbranch_execz .LBB0_3
; %bb.2:
	v_mad_co_u64_u32 v[0:1], null, 0xffffe328, s8, v[0:1]
	s_mul_i32 s2, s9, 0xffffe328
	s_clause 0x3
	global_load_b64 v[4:5], v[72:73], off offset:728
	global_load_b64 v[6:7], v[72:73], off offset:2080
	;; [unrolled: 1-line block ×4, first 2 shown]
	s_wait_alu 0xfffe
	s_sub_co_i32 s2, s2, s8
	global_load_b64 v[12:13], v[72:73], off offset:6136
	s_wait_alu 0xfffe
	v_add_nc_u32_e32 v1, s2, v1
	v_add_co_u32 v14, s2, v0, s14
	s_wait_alu 0xf1ff
	s_delay_alu instid0(VALU_DEP_2) | instskip(NEXT) | instid1(VALU_DEP_2)
	v_add_co_ci_u32_e64 v15, s2, s15, v1, s2
	v_add_co_u32 v16, s2, v14, s14
	global_load_b64 v[0:1], v[0:1], off
	s_wait_alu 0xf1ff
	v_add_co_ci_u32_e64 v17, s2, s15, v15, s2
	v_add_co_u32 v18, s2, v16, s14
	global_load_b64 v[14:15], v[14:15], off
	s_wait_alu 0xf1ff
	v_add_co_ci_u32_e64 v19, s2, s15, v17, s2
	v_add_co_u32 v20, s2, v18, s14
	global_load_b64 v[16:17], v[16:17], off
	s_wait_alu 0xf1ff
	v_add_co_ci_u32_e64 v21, s2, s15, v19, s2
	v_add_co_u32 v22, s2, v20, s14
	global_load_b64 v[18:19], v[18:19], off
	s_wait_alu 0xf1ff
	v_add_co_ci_u32_e64 v23, s2, s15, v21, s2
	v_add_co_u32 v24, s2, v22, s14
	global_load_b64 v[20:21], v[20:21], off
	s_wait_alu 0xf1ff
	v_add_co_ci_u32_e64 v25, s2, s15, v23, s2
	global_load_b64 v[22:23], v[22:23], off
	s_clause 0x1
	global_load_b64 v[26:27], v[72:73], off offset:7488
	global_load_b64 v[28:29], v[72:73], off offset:8840
	global_load_b64 v[24:25], v[24:25], off
	v_add_nc_u32_e32 v32, 0x200, v93
	v_add_nc_u32_e32 v33, 0xc00, v93
	s_wait_loadcnt 0x8
	v_mul_f32_e32 v30, v1, v5
	v_mul_f32_e32 v31, v0, v5
	s_wait_loadcnt 0x7
	v_mul_f32_e32 v5, v15, v7
	v_dual_mul_f32 v7, v14, v7 :: v_dual_add_nc_u32 v34, 0x1600, v93
	s_delay_alu instid0(VALU_DEP_2) | instskip(SKIP_2) | instid1(VALU_DEP_3)
	v_dual_fmac_f32 v30, v0, v4 :: v_dual_fmac_f32 v5, v14, v6
	s_wait_loadcnt 0x6
	v_mul_f32_e32 v0, v17, v9
	v_fma_f32 v6, v15, v6, -v7
	s_wait_loadcnt 0x5
	s_delay_alu instid0(VALU_DEP_2) | instskip(NEXT) | instid1(VALU_DEP_1)
	v_dual_mul_f32 v7, v19, v11 :: v_dual_fmac_f32 v0, v16, v8
	v_fmac_f32_e32 v7, v18, v10
	s_wait_loadcnt 0x2
	v_mul_f32_e32 v14, v22, v27
	v_fma_f32 v31, v1, v4, -v31
	v_dual_mul_f32 v1, v16, v9 :: v_dual_mul_f32 v4, v18, v11
	v_mul_f32_e32 v9, v21, v13
	v_mul_f32_e32 v11, v23, v27
	s_wait_loadcnt 0x0
	v_mul_f32_e32 v15, v24, v29
	v_fma_f32 v1, v17, v8, -v1
	v_fma_f32 v8, v19, v10, -v4
	v_mul_f32_e32 v4, v20, v13
	v_mul_f32_e32 v13, v25, v29
	v_fmac_f32_e32 v9, v20, v12
	v_fmac_f32_e32 v11, v22, v26
	s_delay_alu instid0(VALU_DEP_4)
	v_fma_f32 v10, v21, v12, -v4
	v_fma_f32 v12, v23, v26, -v14
	v_fmac_f32_e32 v13, v24, v28
	v_fma_f32 v14, v25, v28, -v15
	ds_store_2addr_b64 v32, v[30:31], v[5:6] offset0:27 offset1:196
	ds_store_2addr_b64 v33, v[0:1], v[7:8] offset0:45 offset1:214
	;; [unrolled: 1-line block ×3, first 2 shown]
	ds_store_b64 v93, v[13:14] offset:8840
.LBB0_3:
	s_wait_alu 0xfffe
	s_or_b32 exec_lo, exec_lo, s3
	global_wb scope:SCOPE_SE
	s_wait_dscnt 0x0
	s_wait_kmcnt 0x0
	s_barrier_signal -1
	s_barrier_wait -1
	global_inv scope:SCOPE_SE
	ds_load_2addr_b64 v[12:15], v93 offset1:169
	ds_load_2addr_b64 v[16:19], v2 offset0:82 offset1:251
	ds_load_2addr_b64 v[20:23], v3 offset0:36 offset1:205
	ds_load_b64 v[26:27], v93 offset:8112
	s_load_b64 s[0:1], s[0:1], 0x8
	v_mov_b32_e32 v2, 0
	v_mov_b32_e32 v3, 0
	s_delay_alu instid0(VALU_DEP_2) | instskip(NEXT) | instid1(VALU_DEP_2)
	v_mov_b32_e32 v0, v2
                                        ; implicit-def: $vgpr24
	v_mov_b32_e32 v1, v3
	v_dual_mov_b32 v5, v3 :: v_dual_mov_b32 v4, v2
	v_dual_mov_b32 v9, v3 :: v_dual_mov_b32 v8, v2
	s_and_saveexec_b32 s2, vcc_lo
	s_cbranch_execz .LBB0_5
; %bb.4:
	v_add_nc_u32_e32 v0, 0x200, v93
	v_add_nc_u32_e32 v4, 0xc00, v93
	;; [unrolled: 1-line block ×3, first 2 shown]
	ds_load_2addr_b64 v[0:3], v0 offset0:27 offset1:196
	ds_load_2addr_b64 v[4:7], v4 offset0:45 offset1:214
	ds_load_2addr_b64 v[8:11], v8 offset0:63 offset1:232
	ds_load_b64 v[24:25], v93 offset:8840
.LBB0_5:
	s_wait_alu 0xfffe
	s_or_b32 exec_lo, exec_lo, s2
	s_wait_dscnt 0x0
	v_dual_add_f32 v28, v14, v26 :: v_dual_add_f32 v29, v15, v27
	v_dual_sub_f32 v14, v14, v26 :: v_dual_sub_f32 v15, v15, v27
	v_dual_add_f32 v26, v16, v22 :: v_dual_add_f32 v27, v17, v23
	v_dual_sub_f32 v16, v16, v22 :: v_dual_sub_f32 v17, v17, v23
	;; [unrolled: 2-line block ×3, first 2 shown]
	s_delay_alu instid0(VALU_DEP_4) | instskip(SKIP_1) | instid1(VALU_DEP_4)
	v_dual_add_f32 v20, v26, v28 :: v_dual_add_f32 v21, v27, v29
	v_dual_sub_f32 v30, v26, v28 :: v_dual_sub_f32 v31, v27, v29
	v_dual_sub_f32 v32, v28, v22 :: v_dual_sub_f32 v33, v29, v23
	s_delay_alu instid0(VALU_DEP_4)
	v_dual_add_f32 v28, v18, v16 :: v_dual_add_f32 v29, v19, v17
	v_dual_sub_f32 v34, v18, v16 :: v_dual_sub_f32 v35, v19, v17
	v_dual_sub_f32 v16, v16, v14 :: v_dual_add_f32 v21, v23, v21
	v_dual_add_f32 v20, v22, v20 :: v_dual_sub_f32 v17, v17, v15
	v_dual_sub_f32 v26, v22, v26 :: v_dual_sub_f32 v27, v23, v27
	v_dual_sub_f32 v18, v14, v18 :: v_dual_sub_f32 v19, v15, v19
	v_dual_add_f32 v14, v28, v14 :: v_dual_add_f32 v15, v29, v15
	s_delay_alu instid0(VALU_DEP_4)
	v_dual_add_f32 v28, v12, v20 :: v_dual_add_f32 v29, v13, v21
	v_dual_mul_f32 v12, 0x3f4a47b2, v32 :: v_dual_mul_f32 v13, 0x3f4a47b2, v33
	v_dual_mul_f32 v32, 0xbf08b237, v34 :: v_dual_mul_f32 v33, 0xbf08b237, v35
	;; [unrolled: 1-line block ×4, first 2 shown]
	v_dual_fmamk_f32 v20, v20, 0xbf955555, v28 :: v_dual_fmamk_f32 v21, v21, 0xbf955555, v29
	v_dual_fmamk_f32 v26, v26, 0x3d64c772, v12 :: v_dual_fmamk_f32 v27, v27, 0x3d64c772, v13
	v_fma_f32 v12, 0xbf3bfb3b, v30, -v12
	v_fma_f32 v13, 0xbf3bfb3b, v31, -v13
	v_dual_fmamk_f32 v41, v18, 0x3eae86e6, v32 :: v_dual_fmamk_f32 v40, v19, 0x3eae86e6, v33
	v_fma_f32 v16, 0x3f5ff5aa, v16, -v32
	v_fma_f32 v18, 0xbeae86e6, v18, -v34
	v_fma_f32 v19, 0xbeae86e6, v19, -v35
	v_fma_f32 v22, 0x3f3bfb3b, v30, -v22
	v_fma_f32 v23, 0x3f3bfb3b, v31, -v23
	v_fma_f32 v17, 0x3f5ff5aa, v17, -v33
	v_dual_add_f32 v12, v12, v20 :: v_dual_add_f32 v13, v13, v21
	v_dual_fmac_f32 v16, 0x3ee1c552, v14 :: v_dual_fmac_f32 v19, 0x3ee1c552, v15
	s_delay_alu instid0(VALU_DEP_3) | instskip(SKIP_2) | instid1(VALU_DEP_3)
	v_dual_fmac_f32 v18, 0x3ee1c552, v14 :: v_dual_fmac_f32 v17, 0x3ee1c552, v15
	v_dual_add_f32 v22, v22, v20 :: v_dual_add_f32 v23, v23, v21
	v_dual_fmac_f32 v41, 0x3ee1c552, v14 :: v_dual_fmac_f32 v40, 0x3ee1c552, v15
	v_dual_add_f32 v32, v19, v12 :: v_dual_sub_f32 v33, v13, v18
	v_dual_sub_f32 v38, v12, v19 :: v_dual_add_f32 v39, v18, v13
	v_dual_add_f32 v12, v24, v2 :: v_dual_sub_f32 v15, v2, v24
	v_dual_add_f32 v14, v25, v3 :: v_dual_add_f32 v13, v10, v4
	v_dual_sub_f32 v34, v22, v17 :: v_dual_add_f32 v35, v16, v23
	v_dual_add_f32 v36, v17, v22 :: v_dual_sub_f32 v37, v23, v16
	v_dual_sub_f32 v2, v3, v25 :: v_dual_sub_f32 v3, v5, v11
	v_add_f32_e32 v16, v11, v5
	v_dual_sub_f32 v10, v4, v10 :: v_dual_add_f32 v5, v7, v9
	v_dual_sub_f32 v7, v9, v7 :: v_dual_add_f32 v4, v6, v8
	s_delay_alu instid0(VALU_DEP_3) | instskip(NEXT) | instid1(VALU_DEP_3)
	v_dual_sub_f32 v6, v8, v6 :: v_dual_add_f32 v9, v14, v16
	v_dual_add_f32 v8, v12, v13 :: v_dual_sub_f32 v17, v5, v16
	s_delay_alu instid0(VALU_DEP_3) | instskip(NEXT) | instid1(VALU_DEP_4)
	v_add_f32_e32 v19, v3, v7
	v_dual_sub_f32 v23, v12, v4 :: v_dual_sub_f32 v24, v14, v5
	s_delay_alu instid0(VALU_DEP_4) | instskip(NEXT) | instid1(VALU_DEP_4)
	v_dual_sub_f32 v11, v4, v13 :: v_dual_add_f32 v18, v10, v6
	v_dual_sub_f32 v25, v15, v6 :: v_dual_add_f32 v4, v8, v4
	v_dual_add_f32 v26, v26, v20 :: v_dual_add_f32 v27, v27, v21
	v_dual_sub_f32 v43, v6, v10 :: v_dual_sub_f32 v44, v7, v3
	s_delay_alu instid0(VALU_DEP_4) | instskip(NEXT) | instid1(VALU_DEP_4)
	v_dual_add_f32 v5, v9, v5 :: v_dual_add_f32 v22, v15, v18
	v_dual_sub_f32 v21, v2, v7 :: v_dual_add_f32 v0, v4, v0
	v_mul_f32_e32 v8, 0x3d64c772, v11
	s_delay_alu instid0(VALU_DEP_3) | instskip(SKIP_1) | instid1(VALU_DEP_4)
	v_dual_add_f32 v20, v2, v19 :: v_dual_add_f32 v1, v5, v1
	v_mul_f32_e32 v9, 0xbf08b237, v44
	v_fmamk_f32 v7, v4, 0xbf955555, v0
	s_delay_alu instid0(VALU_DEP_4)
	v_fmamk_f32 v19, v23, 0x3f4a47b2, v8
	v_mul_f32_e32 v18, 0x3d64c772, v17
	v_dual_mul_f32 v17, 0xbf08b237, v43 :: v_dual_add_f32 v30, v26, v40
	v_sub_f32_e32 v31, v27, v41
	v_fmamk_f32 v11, v5, 0xbf955555, v1
	v_add_f32_e32 v5, v19, v7
	v_fmamk_f32 v43, v24, 0x3f4a47b2, v18
	v_fmamk_f32 v4, v21, 0x3eae86e6, v9
	v_mul_lo_u16 v44, v94, 7
	v_sub_f32_e32 v40, v26, v40
	s_delay_alu instid0(VALU_DEP_4) | instskip(SKIP_2) | instid1(VALU_DEP_3)
	v_dual_fmamk_f32 v6, v25, 0x3eae86e6, v17 :: v_dual_add_f32 v19, v43, v11
	v_add_co_u32 v42, null, 0x5b, v94
	v_dual_fmac_f32 v4, 0x3ee1c552, v20 :: v_dual_add_f32 v41, v41, v27
	v_fmac_f32_e32 v6, 0x3ee1c552, v22
	v_and_b32_e32 v43, 0xffff, v44
	s_delay_alu instid0(VALU_DEP_4) | instskip(NEXT) | instid1(VALU_DEP_4)
	v_mul_u32_u24_e32 v96, 7, v42
	v_sub_f32_e32 v26, v5, v4
	global_wb scope:SCOPE_SE
	v_add_f32_e32 v27, v6, v19
	v_lshl_add_u32 v97, v43, 3, v95
	s_wait_kmcnt 0x0
	s_barrier_signal -1
	s_barrier_wait -1
	global_inv scope:SCOPE_SE
	ds_store_2addr_b64 v97, v[28:29], v[30:31] offset1:1
	ds_store_2addr_b64 v97, v[32:33], v[34:35] offset0:2 offset1:3
	ds_store_2addr_b64 v97, v[36:37], v[38:39] offset0:4 offset1:5
	ds_store_b64 v97, v[40:41] offset:48
	s_and_saveexec_b32 s2, vcc_lo
	s_cbranch_execz .LBB0_7
; %bb.6:
	v_dual_mul_f32 v23, 0x3f4a47b2, v23 :: v_dual_mul_f32 v24, 0x3f4a47b2, v24
	v_dual_mul_f32 v25, 0x3eae86e6, v25 :: v_dual_sub_f32 v10, v10, v15
	v_dual_sub_f32 v14, v16, v14 :: v_dual_mul_f32 v15, 0x3eae86e6, v21
	v_dual_sub_f32 v12, v13, v12 :: v_dual_mul_f32 v13, 0x3ee1c552, v22
	;; [unrolled: 1-line block ×3, first 2 shown]
	s_delay_alu instid0(VALU_DEP_4) | instskip(NEXT) | instid1(VALU_DEP_4)
	v_fma_f32 v16, 0xbf5ff5aa, v10, -v25
	v_fma_f32 v21, 0xbf3bfb3b, v14, -v24
	;; [unrolled: 1-line block ×3, first 2 shown]
	s_delay_alu instid0(VALU_DEP_4)
	v_fma_f32 v15, 0xbf5ff5aa, v2, -v15
	v_fma_f32 v2, 0x3f5ff5aa, v2, -v9
	;; [unrolled: 1-line block ×4, first 2 shown]
	v_add_f32_e32 v16, v16, v13
	v_fma_f32 v10, 0x3f5ff5aa, v10, -v17
	s_delay_alu instid0(VALU_DEP_4) | instskip(SKIP_2) | instid1(VALU_DEP_4)
	v_dual_add_f32 v12, v5, v4 :: v_dual_add_f32 v17, v8, v7
	v_add_f32_e32 v9, v14, v11
	v_add_f32_e32 v14, v2, v3
	v_dual_add_f32 v15, v15, v3 :: v_dual_add_f32 v10, v10, v13
	v_lshl_add_u32 v4, v96, 3, v95
	s_delay_alu instid0(VALU_DEP_3)
	v_sub_f32_e32 v8, v17, v14
	v_add_f32_e32 v20, v21, v11
	v_add_f32_e32 v21, v22, v7
	v_sub_f32_e32 v13, v19, v6
	v_sub_f32_e32 v7, v9, v10
	v_add_f32_e32 v9, v10, v9
	s_delay_alu instid0(VALU_DEP_4)
	v_dual_sub_f32 v11, v20, v16 :: v_dual_add_f32 v10, v21, v15
	v_dual_sub_f32 v2, v21, v15 :: v_dual_add_f32 v3, v16, v20
	v_add_f32_e32 v6, v17, v14
	ds_store_2addr_b64 v4, v[0:1], v[12:13] offset1:1
	ds_store_2addr_b64 v4, v[10:11], v[8:9] offset0:2 offset1:3
	ds_store_2addr_b64 v4, v[6:7], v[2:3] offset0:4 offset1:5
	ds_store_b64 v4, v[26:27] offset:48
.LBB0_7:
	s_wait_alu 0xfffe
	s_or_b32 exec_lo, exec_lo, s2
	v_and_b32_e32 v0, 0xff, v94
	global_wb scope:SCOPE_SE
	s_wait_dscnt 0x0
	s_barrier_signal -1
	s_barrier_wait -1
	global_inv scope:SCOPE_SE
	v_mul_lo_u16 v0, v0, 37
	s_delay_alu instid0(VALU_DEP_1) | instskip(NEXT) | instid1(VALU_DEP_1)
	v_lshrrev_b16 v0, 8, v0
	v_sub_nc_u16 v1, v94, v0
	s_delay_alu instid0(VALU_DEP_1) | instskip(NEXT) | instid1(VALU_DEP_1)
	v_lshrrev_b16 v1, 1, v1
	v_and_b32_e32 v1, 0x7f, v1
	s_delay_alu instid0(VALU_DEP_1) | instskip(NEXT) | instid1(VALU_DEP_1)
	v_add_nc_u16 v0, v1, v0
	v_lshrrev_b16 v25, 2, v0
	s_delay_alu instid0(VALU_DEP_1) | instskip(NEXT) | instid1(VALU_DEP_1)
	v_mul_lo_u16 v0, v25, 7
	v_sub_nc_u16 v0, v94, v0
	s_delay_alu instid0(VALU_DEP_1) | instskip(NEXT) | instid1(VALU_DEP_1)
	v_and_b32_e32 v24, 0xff, v0
	v_mul_u32_u24_e32 v0, 12, v24
	s_delay_alu instid0(VALU_DEP_1)
	v_lshlrev_b32_e32 v4, 3, v0
	s_clause 0x5
	global_load_b128 v[20:23], v4, s[0:1]
	global_load_b128 v[16:19], v4, s[0:1] offset:16
	global_load_b128 v[8:11], v4, s[0:1] offset:32
	;; [unrolled: 1-line block ×5, first 2 shown]
	v_add_nc_u32_e32 v62, 0x1000, v93
	v_add_nc_u32_e32 v63, 0x400, v93
	;; [unrolled: 1-line block ×3, first 2 shown]
	ds_load_2addr_b64 v[28:31], v93 offset1:91
	ds_load_2addr_b64 v[98:101], v62 offset0:34 offset1:125
	v_add_nc_u32_e32 v64, 0x800, v93
	ds_load_2addr_b64 v[55:58], v63 offset0:54 offset1:145
	s_wait_loadcnt_dscnt 0x502
	v_mul_f32_e32 v37, v31, v21
	v_mul_f32_e32 v53, v30, v21
	s_wait_loadcnt_dscnt 0x301
	v_mul_f32_e32 v41, v98, v11
	ds_load_2addr_b64 v[89:92], v64 offset0:108 offset1:199
	s_wait_dscnt 0x1
	v_dual_mul_f32 v38, v56, v23 :: v_dual_add_nc_u32 v61, 0x1800, v93
	v_mul_f32_e32 v52, v55, v23
	v_dual_mul_f32 v40, v58, v17 :: v_dual_fmac_f32 v53, v31, v20
	s_wait_loadcnt 0x2
	v_dual_mul_f32 v54, v99, v11 :: v_dual_mul_f32 v59, v101, v1
	v_fma_f32 v71, v30, v20, -v37
	v_fma_f32 v55, v55, v22, -v38
	v_fmac_f32_e32 v52, v56, v22
	v_fma_f32 v49, v57, v16, -v40
	s_wait_dscnt 0x0
	v_dual_fmac_f32 v41, v99, v10 :: v_dual_mul_f32 v42, v90, v19
	ds_load_2addr_b64 v[102:105], v68 offset0:88 offset1:179
	ds_load_2addr_b64 v[106:109], v61 offset0:142 offset1:233
	ds_load_b64 v[50:51], v93 offset:8736
	v_mul_f32_e32 v48, v57, v17
	v_mul_f32_e32 v45, v92, v9
	v_dual_mul_f32 v39, v100, v1 :: v_dual_mul_f32 v44, v89, v19
	v_mul_f32_e32 v43, v91, v9
	v_fma_f32 v47, v89, v18, -v42
	s_delay_alu instid0(VALU_DEP_4)
	v_fma_f32 v46, v91, v8, -v45
	v_fma_f32 v45, v98, v10, -v54
	;; [unrolled: 1-line block ×3, first 2 shown]
	v_dual_add_f32 v59, v29, v53 :: v_dual_fmac_f32 v44, v90, v18
	v_fmac_f32_e32 v43, v92, v8
	global_wb scope:SCOPE_SE
	s_wait_loadcnt_dscnt 0x0
	s_barrier_signal -1
	s_barrier_wait -1
	global_inv scope:SCOPE_SE
	v_add_f32_e32 v92, v45, v42
	v_mul_f32_e32 v66, v105, v13
	v_dual_mul_f32 v32, v104, v13 :: v_dual_mul_f32 v35, v50, v7
	v_dual_mul_f32 v36, v102, v3 :: v_dual_mul_f32 v69, v109, v5
	v_mul_f32_e32 v70, v51, v7
	v_dual_mul_f32 v34, v108, v5 :: v_dual_fmac_f32 v39, v101, v0
	s_delay_alu instid0(VALU_DEP_4)
	v_dual_fmac_f32 v32, v105, v12 :: v_dual_fmac_f32 v35, v51, v6
	v_mul_f32_e32 v65, v103, v3
	v_mul_f32_e32 v67, v107, v15
	;; [unrolled: 1-line block ×3, first 2 shown]
	v_fmac_f32_e32 v48, v58, v16
	v_fma_f32 v38, v104, v12, -v66
	v_fma_f32 v31, v108, v4, -v69
	;; [unrolled: 1-line block ×3, first 2 shown]
	v_dual_fmac_f32 v33, v107, v14 :: v_dual_fmac_f32 v34, v109, v4
	s_delay_alu instid0(VALU_DEP_4)
	v_dual_add_f32 v58, v28, v71 :: v_dual_add_f32 v69, v47, v38
	v_sub_f32_e32 v66, v53, v35
	v_fma_f32 v40, v102, v2, -v65
	v_dual_fmac_f32 v36, v103, v2 :: v_dual_add_f32 v51, v53, v35
	v_fma_f32 v37, v106, v14, -v67
	v_dual_add_f32 v50, v71, v30 :: v_dual_add_f32 v57, v48, v33
	v_sub_f32_e32 v65, v71, v30
	v_dual_add_f32 v53, v55, v31 :: v_dual_add_f32 v54, v52, v34
	v_dual_sub_f32 v70, v55, v31 :: v_dual_sub_f32 v91, v48, v33
	v_sub_f32_e32 v71, v52, v34
	v_dual_sub_f32 v104, v45, v42 :: v_dual_add_f32 v55, v58, v55
	v_dual_add_f32 v52, v59, v52 :: v_dual_mul_f32 v59, 0xbeedf032, v65
	v_mul_f32_e32 v58, 0xbeedf032, v66
	v_dual_mul_f32 v106, 0xbf52af12, v66 :: v_dual_mul_f32 v107, 0xbf52af12, v65
	v_dual_mul_f32 v108, 0xbf7e222b, v66 :: v_dual_mul_f32 v109, 0xbf7e222b, v65
	;; [unrolled: 1-line block ×5, first 2 shown]
	v_dual_add_f32 v56, v49, v37 :: v_dual_add_f32 v67, v44, v32
	v_dual_sub_f32 v90, v49, v37 :: v_dual_sub_f32 v99, v44, v32
	v_dual_sub_f32 v98, v47, v38 :: v_dual_add_f32 v89, v46, v40
	v_dual_sub_f32 v100, v43, v36 :: v_dual_sub_f32 v103, v41, v39
	v_sub_f32_e32 v101, v46, v40
	v_dual_add_f32 v49, v55, v49 :: v_dual_add_f32 v48, v52, v48
	v_fmamk_f32 v55, v51, 0x3f62ad3f, v59
	v_fma_f32 v168, 0xbf788fa5, v50, -v66
	v_dual_add_f32 v102, v43, v36 :: v_dual_add_f32 v105, v41, v39
	v_dual_mul_f32 v114, 0xbf52af12, v71 :: v_dual_mul_f32 v115, 0xbf52af12, v70
	v_dual_mul_f32 v116, 0xbf6f5d39, v71 :: v_dual_mul_f32 v117, 0xbf6f5d39, v70
	;; [unrolled: 1-line block ×24, first 2 shown]
	v_fma_f32 v52, 0x3f62ad3f, v50, -v58
	v_fmac_f32_e32 v58, 0x3f62ad3f, v50
	v_fma_f32 v59, 0x3f62ad3f, v51, -v59
	v_fma_f32 v160, 0x3f116cb1, v50, -v106
	v_dual_fmamk_f32 v161, v51, 0x3f116cb1, v107 :: v_dual_fmac_f32 v106, 0x3f116cb1, v50
	v_fma_f32 v107, 0x3f116cb1, v51, -v107
	v_fma_f32 v162, 0x3df6dbef, v50, -v108
	v_dual_fmamk_f32 v163, v51, 0x3df6dbef, v109 :: v_dual_fmac_f32 v108, 0x3df6dbef, v50
	;; [unrolled: 3-line block ×4, first 2 shown]
	v_fma_f32 v113, 0xbf3f9e67, v51, -v113
	v_dual_fmamk_f32 v169, v51, 0xbf788fa5, v65 :: v_dual_fmac_f32 v66, 0xbf788fa5, v50
	v_fma_f32 v50, 0xbf788fa5, v51, -v65
	v_dual_add_f32 v168, v28, v168 :: v_dual_add_f32 v47, v49, v47
	v_add_f32_e32 v44, v48, v44
	v_fma_f32 v51, 0x3f116cb1, v53, -v114
	v_dual_fmamk_f32 v65, v54, 0x3f116cb1, v115 :: v_dual_fmac_f32 v114, 0x3f116cb1, v53
	v_fma_f32 v115, 0x3f116cb1, v54, -v115
	v_fma_f32 v170, 0xbeb58ec6, v53, -v116
	v_dual_fmamk_f32 v171, v54, 0xbeb58ec6, v117 :: v_dual_fmac_f32 v116, 0xbeb58ec6, v53
	v_fma_f32 v117, 0xbeb58ec6, v54, -v117
	;; [unrolled: 3-line block ×5, first 2 shown]
	v_fma_f32 v178, 0x3f62ad3f, v53, -v71
	v_dual_fmamk_f32 v179, v54, 0x3f62ad3f, v70 :: v_dual_add_f32 v52, v28, v52
	v_fmac_f32_e32 v71, 0x3f62ad3f, v53
	v_fma_f32 v53, 0x3f62ad3f, v54, -v70
	v_fma_f32 v54, 0x3df6dbef, v56, -v124
	v_fmamk_f32 v70, v57, 0x3df6dbef, v125
	v_dual_fmac_f32 v124, 0x3df6dbef, v56 :: v_dual_fmamk_f32 v195, v67, 0x3df6dbef, v141
	v_fma_f32 v125, 0x3df6dbef, v57, -v125
	v_fma_f32 v180, 0xbf788fa5, v56, -v126
	v_dual_fmamk_f32 v181, v57, 0xbf788fa5, v127 :: v_dual_fmac_f32 v126, 0xbf788fa5, v56
	v_fma_f32 v127, 0xbf788fa5, v57, -v127
	v_fma_f32 v182, 0xbeb58ec6, v56, -v128
	v_dual_fmamk_f32 v183, v57, 0xbeb58ec6, v129 :: v_dual_fmac_f32 v128, 0xbeb58ec6, v56
	;; [unrolled: 3-line block ×4, first 2 shown]
	v_fma_f32 v133, 0x3f116cb1, v57, -v133
	v_fma_f32 v188, 0xbf3f9e67, v56, -v91
	v_dual_fmamk_f32 v189, v57, 0xbf3f9e67, v90 :: v_dual_add_f32 v58, v28, v58
	v_fmac_f32_e32 v91, 0xbf3f9e67, v56
	v_fma_f32 v56, 0xbf3f9e67, v57, -v90
	v_fma_f32 v57, 0xbeb58ec6, v69, -v134
	v_dual_fmamk_f32 v90, v67, 0xbeb58ec6, v135 :: v_dual_add_f32 v55, v29, v55
	v_dual_fmac_f32 v134, 0xbeb58ec6, v69 :: v_dual_add_f32 v59, v29, v59
	v_fma_f32 v135, 0xbeb58ec6, v67, -v135
	v_fma_f32 v190, 0xbf3f9e67, v69, -v136
	v_dual_fmamk_f32 v191, v67, 0xbf3f9e67, v137 :: v_dual_fmac_f32 v136, 0xbf3f9e67, v69
	v_fma_f32 v137, 0xbf3f9e67, v67, -v137
	v_fma_f32 v192, 0x3f62ad3f, v69, -v138
	v_dual_fmamk_f32 v193, v67, 0x3f62ad3f, v139 :: v_dual_fmac_f32 v138, 0x3f62ad3f, v69
	v_fma_f32 v139, 0x3f62ad3f, v67, -v139
	v_fma_f32 v194, 0x3df6dbef, v69, -v140
	v_dual_fmac_f32 v140, 0x3df6dbef, v69 :: v_dual_add_f32 v107, v29, v107
	v_fma_f32 v141, 0x3df6dbef, v67, -v141
	v_fma_f32 v196, 0xbf788fa5, v69, -v142
	v_dual_fmamk_f32 v197, v67, 0xbf788fa5, v143 :: v_dual_fmac_f32 v142, 0xbf788fa5, v69
	v_fma_f32 v143, 0xbf788fa5, v67, -v143
	v_fma_f32 v198, 0x3f116cb1, v69, -v99
	v_dual_fmac_f32 v99, 0x3f116cb1, v69 :: v_dual_add_f32 v160, v28, v160
	v_dual_fmamk_f32 v69, v67, 0x3f116cb1, v98 :: v_dual_add_f32 v106, v28, v106
	v_fma_f32 v67, 0x3f116cb1, v67, -v98
	v_fma_f32 v98, 0xbf3f9e67, v89, -v144
	v_fmac_f32_e32 v144, 0xbf3f9e67, v89
	v_fma_f32 v199, 0x3df6dbef, v89, -v145
	v_dual_fmac_f32 v145, 0x3df6dbef, v89 :: v_dual_fmamk_f32 v204, v102, 0x3df6dbef, v150
	v_fma_f32 v200, 0x3f116cb1, v89, -v146
	v_dual_fmac_f32 v146, 0x3f116cb1, v89 :: v_dual_fmamk_f32 v205, v102, 0x3f116cb1, v151
	;; [unrolled: 2-line block ×4, first 2 shown]
	v_fma_f32 v203, 0xbeb58ec6, v89, -v100
	v_dual_fmac_f32 v100, 0xbeb58ec6, v89 :: v_dual_add_f32 v163, v29, v163
	v_dual_fmamk_f32 v89, v102, 0xbf3f9e67, v149 :: v_dual_add_f32 v162, v28, v162
	v_dual_fmamk_f32 v208, v102, 0xbeb58ec6, v101 :: v_dual_add_f32 v161, v29, v161
	v_dual_add_f32 v108, v28, v108 :: v_dual_add_f32 v109, v29, v109
	v_dual_add_f32 v164, v28, v164 :: v_dual_add_f32 v165, v29, v165
	;; [unrolled: 1-line block ×6, first 2 shown]
	v_add_f32_e32 v28, v28, v66
	v_add_f32_e32 v29, v29, v50
	v_dual_add_f32 v46, v47, v46 :: v_dual_add_f32 v43, v44, v43
	v_dual_add_f32 v44, v51, v52 :: v_dual_add_f32 v47, v65, v55
	v_dual_add_f32 v55, v116, v106 :: v_dual_add_f32 v50, v115, v59
	v_add_f32_e32 v59, v172, v162
	v_dual_add_f32 v51, v170, v160 :: v_dual_add_f32 v52, v171, v161
	v_add_f32_e32 v65, v173, v163
	v_dual_add_f32 v58, v117, v107 :: v_dual_add_f32 v107, v174, v164
	v_add_f32_e32 v66, v118, v108
	v_add_f32_e32 v106, v119, v109
	v_dual_add_f32 v108, v175, v165 :: v_dual_add_f32 v115, v178, v168
	v_dual_add_f32 v109, v120, v110 :: v_dual_add_f32 v110, v121, v111
	v_add_f32_e32 v113, v123, v113
	v_dual_add_f32 v111, v176, v166 :: v_dual_add_f32 v114, v177, v167
	v_add_f32_e32 v45, v46, v45
	;; [unrolled: 2-line block ×3, first 2 shown]
	v_add_f32_e32 v28, v71, v28
	v_add_f32_e32 v41, v43, v41
	v_dual_add_f32 v43, v54, v44 :: v_dual_add_f32 v46, v124, v49
	v_dual_add_f32 v44, v70, v47 :: v_dual_add_f32 v47, v125, v50
	v_dual_add_f32 v49, v180, v51 :: v_dual_add_f32 v50, v181, v52
	v_dual_add_f32 v51, v126, v55 :: v_dual_add_f32 v52, v127, v58
	v_dual_add_f32 v53, v182, v59 :: v_dual_add_f32 v54, v183, v65
	v_add_f32_e32 v55, v128, v66
	v_dual_add_f32 v58, v129, v106 :: v_dual_add_f32 v59, v184, v107
	v_dual_add_f32 v65, v185, v108 :: v_dual_add_f32 v66, v130, v109
	;; [unrolled: 1-line block ×7, first 2 shown]
	v_add_f32_e32 v42, v45, v42
	v_fma_f32 v149, 0xbf3f9e67, v102, -v149
	v_fma_f32 v150, 0x3df6dbef, v102, -v150
	;; [unrolled: 1-line block ×5, first 2 shown]
	v_add_f32_e32 v41, v57, v43
	v_add_f32_e32 v43, v90, v44
	v_dual_add_f32 v44, v134, v46 :: v_dual_add_f32 v45, v135, v47
	v_dual_add_f32 v46, v190, v49 :: v_dual_add_f32 v47, v191, v50
	;; [unrolled: 1-line block ×6, first 2 shown]
	v_add_f32_e32 v58, v141, v70
	v_dual_add_f32 v57, v140, v66 :: v_dual_add_f32 v66, v142, v107
	v_dual_add_f32 v59, v196, v71 :: v_dual_add_f32 v70, v143, v108
	;; [unrolled: 1-line block ×5, first 2 shown]
	v_dual_mul_f32 v154, 0xbe750f2a, v103 :: v_dual_mul_f32 v155, 0xbe750f2a, v104
	v_dual_add_f32 v41, v89, v43 :: v_dual_add_f32 v42, v144, v44
	v_dual_add_f32 v43, v149, v45 :: v_dual_add_f32 v44, v199, v46
	;; [unrolled: 1-line block ×5, first 2 shown]
	v_add_f32_e32 v51, v146, v53
	v_dual_add_f32 v53, v201, v55 :: v_dual_add_f32 v54, v206, v56
	v_dual_add_f32 v55, v147, v57 :: v_dual_add_f32 v38, v40, v38
	;; [unrolled: 1-line block ×4, first 2 shown]
	v_add_f32_e32 v32, v36, v32
	v_dual_mul_f32 v156, 0x3eedf032, v103 :: v_dual_mul_f32 v157, 0x3eedf032, v104
	v_fma_f32 v101, 0xbeb58ec6, v102, -v101
	v_fma_f32 v102, 0xbf788fa5, v92, -v154
	v_dual_add_f32 v71, v198, v109 :: v_dual_add_f32 v48, v69, v48
	v_dual_add_f32 v69, v100, v28 :: v_dual_add_f32 v36, v38, v37
	s_delay_alu instid0(VALU_DEP_3) | instskip(SKIP_3) | instid1(VALU_DEP_4)
	v_dual_add_f32 v33, v32, v33 :: v_dual_add_f32 v28, v102, v39
	v_dual_mul_f32 v158, 0xbf29c268, v103 :: v_dual_mul_f32 v159, 0xbf29c268, v104
	v_fmamk_f32 v211, v105, 0x3f62ad3f, v157
	v_fma_f32 v157, 0x3f62ad3f, v105, -v157
	v_dual_add_f32 v31, v36, v31 :: v_dual_add_f32 v34, v33, v34
	v_dual_fmamk_f32 v209, v105, 0xbf788fa5, v155 :: v_dual_fmac_f32 v154, 0xbf788fa5, v92
	v_fma_f32 v155, 0xbf788fa5, v105, -v155
	s_delay_alu instid0(VALU_DEP_3)
	v_dual_add_f32 v30, v31, v30 :: v_dual_add_f32 v31, v34, v35
	v_fma_f32 v38, 0xbf3f9e67, v92, -v158
	v_dual_add_f32 v35, v157, v47 :: v_dual_fmac_f32 v158, 0xbf3f9e67, v92
	v_fma_f32 v210, 0x3f62ad3f, v92, -v156
	v_fmac_f32_e32 v156, 0x3f62ad3f, v92
	v_dual_add_f32 v67, v208, v48 :: v_dual_add_f32 v70, v101, v29
	s_delay_alu instid0(VALU_DEP_3) | instskip(SKIP_4) | instid1(VALU_DEP_4)
	v_dual_add_f32 v33, v155, v43 :: v_dual_add_f32 v36, v210, v44
	v_dual_fmamk_f32 v39, v105, 0xbf3f9e67, v159 :: v_dual_add_f32 v38, v38, v49
	v_dual_add_f32 v40, v158, v51 :: v_dual_mul_f32 v43, 0x3f52af12, v104
	v_dual_mul_f32 v48, 0xbf6f5d39, v103 :: v_dual_mul_f32 v49, 0xbf6f5d39, v104
	v_dual_add_f32 v37, v211, v45 :: v_dual_add_f32 v34, v156, v46
	v_dual_mul_f32 v44, 0x3f52af12, v103 :: v_dual_add_f32 v39, v39, v50
	s_delay_alu instid0(VALU_DEP_4) | instskip(NEXT) | instid1(VALU_DEP_4)
	v_fma_f32 v46, 0x3f116cb1, v105, -v43
	v_fmamk_f32 v50, v105, 0xbeb58ec6, v49
	v_fma_f32 v49, 0xbeb58ec6, v105, -v49
	v_dual_add_f32 v59, v148, v66 :: v_dual_add_f32 v66, v203, v71
	v_fmamk_f32 v45, v105, 0x3f116cb1, v43
	v_fma_f32 v47, 0xbeb58ec6, v92, -v48
	s_delay_alu instid0(VALU_DEP_4)
	v_dual_fmac_f32 v48, 0xbeb58ec6, v92 :: v_dual_add_f32 v49, v49, v65
	v_and_b32_e32 v25, 0xffff, v25
	v_dual_add_f32 v29, v209, v41 :: v_dual_add_f32 v32, v154, v42
	v_fma_f32 v41, 0xbf3f9e67, v105, -v159
	v_fma_f32 v42, 0x3f116cb1, v92, -v44
	v_dual_fmac_f32 v44, 0x3f116cb1, v92 :: v_dual_add_f32 v43, v45, v54
	v_dual_add_f32 v45, v46, v56 :: v_dual_add_f32 v46, v47, v57
	v_dual_add_f32 v47, v50, v58 :: v_dual_mul_f32 v50, 0x3f7e222b, v103
	v_dual_mul_f32 v51, 0x3f7e222b, v104 :: v_dual_add_f32 v48, v48, v59
	v_mul_u32_u24_e32 v25, 0x5b, v25
	v_dual_add_f32 v41, v41, v52 :: v_dual_add_f32 v42, v42, v53
	s_delay_alu instid0(VALU_DEP_3) | instskip(SKIP_1) | instid1(VALU_DEP_4)
	v_fmamk_f32 v53, v105, 0x3df6dbef, v51
	v_fma_f32 v51, 0x3df6dbef, v105, -v51
	v_add_nc_u32_e32 v54, v25, v24
	v_fma_f32 v52, 0x3df6dbef, v92, -v50
	s_delay_alu instid0(VALU_DEP_4) | instskip(NEXT) | instid1(VALU_DEP_4)
	v_dual_fmac_f32 v50, 0x3df6dbef, v92 :: v_dual_add_f32 v25, v53, v67
	v_add_f32_e32 v51, v51, v70
	s_delay_alu instid0(VALU_DEP_4) | instskip(NEXT) | instid1(VALU_DEP_4)
	v_lshl_add_u32 v98, v54, 3, v95
	v_add_f32_e32 v24, v52, v66
	s_delay_alu instid0(VALU_DEP_4)
	v_add_f32_e32 v50, v50, v69
	v_add_f32_e32 v44, v44, v55
	ds_store_2addr_b64 v98, v[30:31], v[28:29] offset1:7
	ds_store_2addr_b64 v98, v[36:37], v[38:39] offset0:14 offset1:21
	ds_store_2addr_b64 v98, v[42:43], v[46:47] offset0:28 offset1:35
	;; [unrolled: 1-line block ×3, first 2 shown]
	v_mad_co_u64_u32 v[24:25], null, 0x60, v94, s[0:1]
	ds_store_2addr_b64 v98, v[48:49], v[44:45] offset0:56 offset1:63
	ds_store_2addr_b64 v98, v[40:41], v[34:35] offset0:70 offset1:77
	ds_store_b64 v98, v[32:33] offset:672
	global_wb scope:SCOPE_SE
	s_wait_dscnt 0x0
	s_barrier_signal -1
	s_barrier_wait -1
	global_inv scope:SCOPE_SE
	s_clause 0x5
	global_load_b128 v[48:51], v[24:25], off offset:672
	global_load_b128 v[44:47], v[24:25], off offset:688
	global_load_b128 v[36:39], v[24:25], off offset:704
	global_load_b128 v[28:31], v[24:25], off offset:720
	global_load_b128 v[40:43], v[24:25], off offset:736
	global_load_b128 v[32:35], v[24:25], off offset:752
	ds_load_2addr_b64 v[52:55], v93 offset1:91
	ds_load_2addr_b64 v[99:102], v63 offset0:54 offset1:145
	ds_load_2addr_b64 v[103:106], v64 offset0:108 offset1:199
	;; [unrolled: 1-line block ×5, first 2 shown]
	ds_load_b64 v[119:120], v93 offset:8736
	s_add_nc_u64 s[0:1], s[12:13], 0x24f8
	s_wait_loadcnt_dscnt 0x505
	v_mul_f32_e32 v59, v100, v51
	v_dual_mul_f32 v121, v54, v49 :: v_dual_mul_f32 v122, v99, v51
	s_wait_loadcnt_dscnt 0x303
	v_dual_mul_f32 v123, v101, v45 :: v_dual_mul_f32 v90, v108, v39
	s_wait_loadcnt_dscnt 0x101
	v_dual_mul_f32 v25, v109, v29 :: v_dual_mul_f32 v66, v115, v43
	v_dual_mul_f32 v89, v106, v37 :: v_dual_mul_f32 v24, v107, v39
	;; [unrolled: 1-line block ×3, first 2 shown]
	v_dual_mul_f32 v65, v113, v41 :: v_dual_fmac_f32 v122, v100, v50
	s_wait_loadcnt 0x0
	s_delay_alu instid0(VALU_DEP_2)
	v_dual_mul_f32 v67, v117, v33 :: v_dual_fmac_f32 v56, v106, v36
	s_wait_dscnt 0x0
	v_dual_mul_f32 v69, v119, v35 :: v_dual_fmac_f32 v24, v108, v38
	v_dual_fmac_f32 v121, v55, v48 :: v_dual_fmac_f32 v66, v116, v42
	v_dual_fmac_f32 v123, v102, v44 :: v_dual_mul_f32 v58, v55, v49
	v_dual_mul_f32 v71, v104, v47 :: v_dual_mul_f32 v70, v102, v45
	v_dual_mul_f32 v91, v103, v47 :: v_dual_mul_f32 v126, v114, v41
	;; [unrolled: 1-line block ×3, first 2 shown]
	v_dual_mul_f32 v129, v120, v35 :: v_dual_add_f32 v102, v53, v121
	v_fmac_f32_e32 v65, v114, v40
	v_dual_fmac_f32 v67, v118, v32 :: v_dual_sub_f32 v114, v123, v66
	v_dual_fmac_f32 v69, v120, v34 :: v_dual_mul_f32 v124, v110, v29
	v_mul_f32_e32 v57, v111, v31
	v_fma_f32 v130, v54, v48, -v58
	v_fma_f32 v99, v99, v50, -v59
	;; [unrolled: 1-line block ×4, first 2 shown]
	v_fmac_f32_e32 v25, v110, v28
	v_fma_f32 v71, v117, v32, -v128
	v_fma_f32 v70, v119, v34, -v129
	v_sub_f32_e32 v110, v122, v67
	v_dual_sub_f32 v106, v121, v69 :: v_dual_fmac_f32 v91, v104, v46
	v_add_f32_e32 v104, v121, v69
	v_fma_f32 v58, v105, v36, -v89
	v_fma_f32 v55, v109, v28, -v124
	v_dual_fmac_f32 v57, v112, v30 :: v_dual_add_f32 v108, v122, v67
	v_dual_sub_f32 v109, v99, v71 :: v_dual_mul_f32 v120, 0xbf52af12, v106
	v_sub_f32_e32 v105, v130, v70
	v_add_f32_e32 v112, v123, v66
	v_dual_add_f32 v101, v52, v130 :: v_dual_add_f32 v116, v91, v65
	v_fma_f32 v54, v107, v38, -v90
	v_fma_f32 v90, v113, v40, -v126
	;; [unrolled: 1-line block ×3, first 2 shown]
	v_dual_add_f32 v103, v130, v70 :: v_dual_sub_f32 v118, v91, v65
	v_dual_add_f32 v107, v99, v71 :: v_dual_mul_f32 v130, 0xbf52af12, v109
	v_dual_add_f32 v99, v101, v99 :: v_dual_mul_f32 v128, 0xbf29c268, v105
	;; [unrolled: 1-line block ×3, first 2 shown]
	v_dual_mul_f32 v102, 0xbeedf032, v106 :: v_dual_mul_f32 v119, 0xbeedf032, v105
	v_fma_f32 v59, v111, v30, -v125
	v_dual_add_f32 v111, v100, v89 :: v_dual_mul_f32 v122, 0xbf7e222b, v106
	v_sub_f32_e32 v113, v100, v89
	v_dual_sub_f32 v117, v92, v90 :: v_dual_mul_f32 v126, 0xbf6f5d39, v105
	v_mul_f32_e32 v151, 0x3f29c268, v118
	v_mul_f32_e32 v153, 0x3eedf032, v118
	s_delay_alu instid0(VALU_DEP_3)
	v_dual_mul_f32 v155, 0xbf7e222b, v118 :: v_dual_mul_f32 v156, 0xbf7e222b, v117
	v_dual_mul_f32 v157, 0x3e750f2a, v118 :: v_dual_mul_f32 v158, 0x3e750f2a, v117
	v_dual_add_f32 v99, v99, v100 :: v_dual_add_f32 v100, v101, v123
	v_fma_f32 v101, 0x3f62ad3f, v103, -v102
	v_dual_fmamk_f32 v123, v104, 0x3f62ad3f, v119 :: v_dual_fmac_f32 v102, 0x3f62ad3f, v103
	v_mul_f32_e32 v121, 0xbf52af12, v105
	v_fmamk_f32 v166, v104, 0xbf3f9e67, v128
	v_fma_f32 v128, 0xbf3f9e67, v104, -v128
	v_mul_f32_e32 v149, 0xbf6f5d39, v118
	v_mul_f32_e32 v118, 0x3f52af12, v118
	v_dual_mul_f32 v125, 0xbf6f5d39, v106 :: v_dual_mul_f32 v150, 0xbf6f5d39, v117
	v_dual_add_f32 v123, v53, v123 :: v_dual_add_f32 v102, v52, v102
	v_fmamk_f32 v160, v104, 0x3f116cb1, v121
	v_mul_f32_e32 v127, 0xbf29c268, v106
	v_dual_add_f32 v115, v92, v90 :: v_dual_mul_f32 v124, 0xbf7e222b, v105
	v_mul_f32_e32 v106, 0xbe750f2a, v106
	v_dual_mul_f32 v129, 0xbf52af12, v110 :: v_dual_mul_f32 v148, 0xbf52af12, v113
	v_dual_mul_f32 v135, 0x3f29c268, v110 :: v_dual_mul_f32 v136, 0x3f29c268, v109
	;; [unrolled: 1-line block ×3, first 2 shown]
	v_fma_f32 v119, 0x3f62ad3f, v104, -v119
	v_fma_f32 v159, 0x3f116cb1, v103, -v120
	v_dual_fmac_f32 v120, 0x3f116cb1, v103 :: v_dual_add_f32 v101, v52, v101
	v_mul_f32_e32 v105, 0xbe750f2a, v105
	v_fma_f32 v163, 0xbeb58ec6, v103, -v125
	v_add_f32_e32 v160, v53, v160
	s_delay_alu instid0(VALU_DEP_4)
	v_add_f32_e32 v120, v52, v120
	v_fma_f32 v165, 0xbf3f9e67, v103, -v127
	v_dual_mul_f32 v133, 0xbe750f2a, v110 :: v_dual_mul_f32 v134, 0xbe750f2a, v109
	v_mul_f32_e32 v109, 0x3eedf032, v109
	v_fma_f32 v121, 0x3f116cb1, v104, -v121
	v_fma_f32 v161, 0x3df6dbef, v103, -v122
	v_fmamk_f32 v162, v104, 0x3df6dbef, v124
	v_fmac_f32_e32 v122, 0x3df6dbef, v103
	v_fma_f32 v124, 0x3df6dbef, v104, -v124
	v_add_f32_e32 v121, v53, v121
	v_mul_f32_e32 v131, 0xbf6f5d39, v110
	v_mul_f32_e32 v110, 0x3eedf032, v110
	v_dual_fmamk_f32 v164, v104, 0xbeb58ec6, v126 :: v_dual_fmac_f32 v125, 0xbeb58ec6, v103
	v_mul_f32_e32 v147, 0xbf52af12, v114
	v_fma_f32 v126, 0xbeb58ec6, v104, -v126
	s_delay_alu instid0(VALU_DEP_3)
	v_dual_fmac_f32 v127, 0xbf3f9e67, v103 :: v_dual_add_f32 v164, v53, v164
	v_fma_f32 v167, 0xbf788fa5, v103, -v106
	v_dual_fmamk_f32 v168, v104, 0xbf788fa5, v105 :: v_dual_add_f32 v119, v53, v119
	v_dual_fmac_f32 v106, 0xbf788fa5, v103 :: v_dual_add_f32 v161, v52, v161
	v_fma_f32 v103, 0xbf788fa5, v104, -v105
	v_fma_f32 v104, 0x3f116cb1, v107, -v129
	;; [unrolled: 1-line block ×4, first 2 shown]
	v_fmac_f32_e32 v137, 0x3df6dbef, v107
	v_dual_fmamk_f32 v105, v108, 0x3f116cb1, v130 :: v_dual_add_f32 v162, v53, v162
	v_dual_add_f32 v163, v52, v163 :: v_dual_add_f32 v168, v53, v168
	v_dual_add_f32 v165, v52, v165 :: v_dual_add_f32 v92, v99, v92
	v_dual_mul_f32 v139, 0xbf7e222b, v114 :: v_dual_mul_f32 v140, 0xbf7e222b, v113
	v_dual_mul_f32 v141, 0xbe750f2a, v114 :: v_dual_mul_f32 v142, 0xbe750f2a, v113
	;; [unrolled: 1-line block ×5, first 2 shown]
	v_dual_fmac_f32 v129, 0x3f116cb1, v107 :: v_dual_fmamk_f32 v186, v112, 0x3f116cb1, v148
	v_fma_f32 v171, 0xbf788fa5, v107, -v133
	v_dual_fmamk_f32 v172, v108, 0xbf788fa5, v134 :: v_dual_fmac_f32 v133, 0xbf788fa5, v107
	v_fma_f32 v134, 0xbf788fa5, v108, -v134
	v_dual_fmamk_f32 v174, v108, 0xbf3f9e67, v136 :: v_dual_fmac_f32 v135, 0xbf3f9e67, v107
	v_fma_f32 v177, 0x3f62ad3f, v107, -v110
	v_fmamk_f32 v178, v108, 0x3f62ad3f, v109
	v_fma_f32 v185, 0x3f116cb1, v111, -v147
	v_dual_fmac_f32 v147, 0x3f116cb1, v111 :: v_dual_add_f32 v122, v52, v122
	v_add_f32_e32 v124, v53, v124
	v_fma_f32 v169, 0xbeb58ec6, v107, -v131
	v_dual_fmamk_f32 v170, v108, 0xbeb58ec6, v132 :: v_dual_fmac_f32 v131, 0xbeb58ec6, v107
	v_fma_f32 v132, 0xbeb58ec6, v108, -v132
	v_add_f32_e32 v167, v52, v167
	v_add_f32_e32 v91, v100, v91
	v_dual_add_f32 v99, v104, v101 :: v_dual_add_f32 v100, v105, v123
	v_dual_add_f32 v123, v173, v163 :: v_dual_add_f32 v92, v92, v58
	v_fma_f32 v130, 0x3f116cb1, v108, -v130
	v_fma_f32 v136, 0xbf3f9e67, v108, -v136
	v_fmamk_f32 v176, v108, 0x3df6dbef, v138
	v_fma_f32 v138, 0x3df6dbef, v108, -v138
	v_dual_fmac_f32 v110, 0x3f62ad3f, v107 :: v_dual_add_f32 v125, v52, v125
	v_fma_f32 v107, 0x3f62ad3f, v108, -v109
	v_fma_f32 v108, 0x3df6dbef, v111, -v139
	v_dual_fmamk_f32 v109, v112, 0x3df6dbef, v140 :: v_dual_add_f32 v126, v53, v126
	v_fmac_f32_e32 v139, 0x3df6dbef, v111
	v_fma_f32 v179, 0xbf788fa5, v111, -v141
	v_dual_fmamk_f32 v180, v112, 0xbf788fa5, v142 :: v_dual_fmac_f32 v141, 0xbf788fa5, v111
	v_fma_f32 v181, 0xbeb58ec6, v111, -v143
	v_dual_fmamk_f32 v182, v112, 0xbeb58ec6, v144 :: v_dual_fmac_f32 v143, 0xbeb58ec6, v111
	;; [unrolled: 2-line block ×3, first 2 shown]
	v_fma_f32 v187, 0xbf3f9e67, v111, -v114
	v_dual_fmac_f32 v114, 0xbf3f9e67, v111 :: v_dual_fmamk_f32 v111, v112, 0xbf3f9e67, v113
	v_dual_add_f32 v159, v52, v159 :: v_dual_add_f32 v166, v53, v166
	v_dual_add_f32 v127, v52, v127 :: v_dual_add_f32 v104, v170, v160
	v_add_f32_e32 v128, v53, v128
	v_dual_add_f32 v52, v52, v106 :: v_dual_add_f32 v53, v53, v103
	s_delay_alu instid0(VALU_DEP_4)
	v_add_f32_e32 v103, v169, v159
	v_dual_add_f32 v101, v129, v102 :: v_dual_add_f32 v102, v130, v119
	v_dual_add_f32 v105, v131, v120 :: v_dual_add_f32 v106, v132, v121
	;; [unrolled: 1-line block ×3, first 2 shown]
	v_add_f32_e32 v122, v134, v124
	v_add_f32_e32 v124, v174, v164
	v_dual_add_f32 v91, v91, v56 :: v_dual_add_f32 v126, v136, v126
	v_dual_add_f32 v129, v175, v165 :: v_dual_add_f32 v132, v178, v168
	;; [unrolled: 1-line block ×3, first 2 shown]
	v_fma_f32 v140, 0x3df6dbef, v112, -v140
	s_delay_alu instid0(VALU_DEP_4) | instskip(NEXT) | instid1(VALU_DEP_4)
	v_add_f32_e32 v91, v91, v24
	v_dual_add_f32 v111, v111, v132 :: v_dual_mul_f32 v154, 0x3eedf032, v117
	s_delay_alu instid0(VALU_DEP_4)
	v_add_f32_e32 v92, v92, v55
	v_fma_f32 v142, 0xbf788fa5, v112, -v142
	v_fma_f32 v144, 0xbeb58ec6, v112, -v144
	;; [unrolled: 1-line block ×6, first 2 shown]
	v_dual_fmamk_f32 v188, v116, 0xbeb58ec6, v150 :: v_dual_fmac_f32 v149, 0xbeb58ec6, v115
	v_dual_add_f32 v101, v139, v101 :: v_dual_add_f32 v104, v180, v104
	v_dual_add_f32 v102, v140, v102 :: v_dual_add_f32 v91, v91, v25
	v_add_f32_e32 v92, v92, v59
	v_fmamk_f32 v192, v116, 0x3f62ad3f, v154
	v_fma_f32 v154, 0x3f62ad3f, v116, -v154
	v_dual_add_f32 v119, v171, v161 :: v_dual_add_f32 v120, v172, v162
	v_dual_add_f32 v125, v135, v125 :: v_dual_add_f32 v130, v176, v166
	;; [unrolled: 1-line block ×5, first 2 shown]
	v_add_f32_e32 v91, v91, v57
	v_mul_f32_e32 v152, 0x3f29c268, v117
	v_dual_add_f32 v53, v107, v53 :: v_dual_add_f32 v100, v109, v100
	v_add_f32_e32 v107, v181, v119
	v_dual_add_f32 v109, v143, v121 :: v_dual_add_f32 v122, v146, v126
	v_add_f32_e32 v119, v183, v123
	v_dual_add_f32 v121, v145, v125 :: v_dual_add_f32 v126, v148, v128
	v_dual_add_f32 v123, v185, v129 :: v_dual_add_f32 v52, v114, v52
	v_sub_f32_e32 v114, v56, v57
	v_add_f32_e32 v89, v90, v89
	v_dual_add_f32 v90, v154, v110 :: v_dual_add_f32 v65, v91, v65
	v_fma_f32 v150, 0xbeb58ec6, v116, -v150
	v_fma_f32 v189, 0xbf3f9e67, v115, -v151
	v_dual_fmamk_f32 v190, v116, 0xbf3f9e67, v152 :: v_dual_fmac_f32 v151, 0xbf3f9e67, v115
	v_fma_f32 v191, 0x3f62ad3f, v115, -v153
	v_fmac_f32_e32 v153, 0x3f62ad3f, v115
	v_fma_f32 v193, 0x3df6dbef, v115, -v155
	v_dual_fmamk_f32 v194, v116, 0x3df6dbef, v156 :: v_dual_fmac_f32 v155, 0x3df6dbef, v115
	v_fma_f32 v156, 0x3df6dbef, v116, -v156
	v_dual_add_f32 v99, v108, v99 :: v_dual_add_f32 v106, v142, v106
	v_dual_add_f32 v103, v179, v103 :: v_dual_add_f32 v108, v182, v120
	;; [unrolled: 1-line block ×3, first 2 shown]
	v_fma_f32 v195, 0xbf788fa5, v115, -v157
	v_dual_fmamk_f32 v196, v116, 0xbf788fa5, v158 :: v_dual_fmac_f32 v157, 0xbf788fa5, v115
	v_dual_add_f32 v124, v186, v130 :: v_dual_add_f32 v125, v147, v127
	v_dual_add_f32 v100, v188, v100 :: v_dual_add_f32 v127, v187, v131
	;; [unrolled: 1-line block ×5, first 2 shown]
	v_add_f32_e32 v108, v193, v119
	v_dual_add_f32 v91, v191, v107 :: v_dual_mul_f32 v112, 0x3f52af12, v117
	v_dual_add_f32 v107, v153, v109 :: v_dual_add_f32 v110, v195, v123
	v_add_f32_e32 v109, v194, v120
	v_dual_add_f32 v67, v65, v67 :: v_dual_add_f32 v56, v56, v57
	v_dual_add_f32 v119, v58, v59 :: v_dual_mul_f32 v120, 0xbf29c268, v114
	v_dual_add_f32 v66, v89, v71 :: v_dual_add_f32 v89, v156, v122
	v_dual_sub_f32 v58, v58, v59 :: v_dual_fmamk_f32 v117, v116, 0x3f116cb1, v112
	v_fma_f32 v59, 0x3f116cb1, v116, -v112
	s_delay_alu instid0(VALU_DEP_3) | instskip(NEXT) | instid1(VALU_DEP_3)
	v_dual_add_f32 v65, v66, v70 :: v_dual_add_f32 v66, v67, v69
	v_dual_add_f32 v67, v196, v124 :: v_dual_mul_f32 v112, 0xbf29c268, v58
	v_fma_f32 v70, 0x3f116cb1, v115, -v118
	v_fmac_f32_e32 v118, 0x3f116cb1, v115
	v_mul_f32_e32 v115, 0x3f7e222b, v58
	v_add_f32_e32 v53, v59, v53
	v_fmamk_f32 v59, v56, 0xbf3f9e67, v112
	v_fma_f32 v112, 0xbf3f9e67, v56, -v112
	v_fma_f32 v152, 0xbf3f9e67, v116, -v152
	v_add_f32_e32 v99, v113, v99
	v_fma_f32 v69, 0xbf788fa5, v116, -v158
	v_dual_add_f32 v113, v157, v125 :: v_dual_add_f32 v52, v118, v52
	v_add_f32_e32 v102, v112, v102
	v_fma_f32 v57, 0xbf3f9e67, v119, -v120
	v_add_f32_e32 v106, v152, v106
	v_dual_add_f32 v69, v69, v126 :: v_dual_fmamk_f32 v112, v56, 0x3df6dbef, v115
	s_delay_alu instid0(VALU_DEP_3) | instskip(SKIP_2) | instid1(VALU_DEP_4)
	v_dual_mul_f32 v116, 0xbf52af12, v114 :: v_dual_add_f32 v57, v57, v99
	v_mul_f32_e32 v99, 0x3f7e222b, v114
	v_fmac_f32_e32 v120, 0xbf3f9e67, v119
	v_add_f32_e32 v104, v112, v104
	s_delay_alu instid0(VALU_DEP_4) | instskip(SKIP_4) | instid1(VALU_DEP_3)
	v_fma_f32 v112, 0x3f116cb1, v119, -v116
	v_add_f32_e32 v59, v59, v100
	v_fma_f32 v100, 0x3df6dbef, v119, -v99
	v_dual_add_f32 v101, v120, v101 :: v_dual_fmac_f32 v116, 0x3f116cb1, v119
	v_dual_add_f32 v71, v155, v121 :: v_dual_add_f32 v70, v70, v127
	v_add_f32_e32 v100, v100, v103
	v_fma_f32 v103, 0x3df6dbef, v56, -v115
	v_mul_f32_e32 v115, 0xbf52af12, v58
	v_add_f32_e32 v107, v116, v107
	s_delay_alu instid0(VALU_DEP_3) | instskip(SKIP_1) | instid1(VALU_DEP_4)
	v_dual_add_f32 v116, v54, v55 :: v_dual_add_f32 v103, v103, v106
	v_add_f32_e32 v106, v112, v91
	v_fmamk_f32 v91, v56, 0x3f116cb1, v115
	v_fma_f32 v112, 0x3f116cb1, v56, -v115
	s_delay_alu instid0(VALU_DEP_2) | instskip(NEXT) | instid1(VALU_DEP_2)
	v_dual_add_f32 v118, v91, v92 :: v_dual_add_f32 v111, v117, v111
	v_add_f32_e32 v90, v112, v90
	v_mul_f32_e32 v117, 0x3e750f2a, v58
	v_mul_f32_e32 v92, 0x3eedf032, v114
	;; [unrolled: 1-line block ×4, first 2 shown]
	s_delay_alu instid0(VALU_DEP_4) | instskip(NEXT) | instid1(VALU_DEP_1)
	v_fmamk_f32 v91, v56, 0xbf788fa5, v117
	v_add_f32_e32 v109, v91, v109
	v_fma_f32 v91, 0x3f62ad3f, v119, -v92
	v_fmac_f32_e32 v99, 0x3df6dbef, v119
	v_fmac_f32_e32 v92, 0x3f62ad3f, v119
	s_delay_alu instid0(VALU_DEP_3) | instskip(NEXT) | instid1(VALU_DEP_3)
	v_add_f32_e32 v110, v91, v110
	v_add_f32_e32 v99, v99, v105
	v_mul_f32_e32 v105, 0x3e750f2a, v114
	v_mul_f32_e32 v114, 0xbf6f5d39, v114
	v_fma_f32 v91, 0x3f62ad3f, v56, -v112
	s_delay_alu instid0(VALU_DEP_3) | instskip(NEXT) | instid1(VALU_DEP_1)
	v_fma_f32 v115, 0xbf788fa5, v119, -v105
	v_dual_fmac_f32 v105, 0xbf788fa5, v119 :: v_dual_add_f32 v108, v115, v108
	v_fma_f32 v115, 0xbf788fa5, v56, -v117
	s_delay_alu instid0(VALU_DEP_2)
	v_add_f32_e32 v71, v105, v71
	v_fmamk_f32 v105, v56, 0x3f62ad3f, v112
	v_add_f32_e32 v112, v92, v113
	v_sub_f32_e32 v113, v24, v25
	v_add_f32_e32 v89, v115, v89
	v_sub_f32_e32 v117, v54, v55
	v_add_f32_e32 v67, v105, v67
	v_fma_f32 v105, 0xbeb58ec6, v119, -v114
	v_fmac_f32_e32 v114, 0xbeb58ec6, v119
	v_fma_f32 v54, 0xbeb58ec6, v56, -v58
	v_add_f32_e32 v115, v91, v69
	v_fmamk_f32 v69, v56, 0xbeb58ec6, v58
	s_delay_alu instid0(VALU_DEP_4) | instskip(SKIP_2) | instid1(VALU_DEP_2)
	v_dual_add_f32 v105, v105, v70 :: v_dual_add_f32 v114, v114, v52
	v_mul_f32_e32 v52, 0x3eedf032, v113
	v_add_f32_e32 v120, v54, v53
	v_fma_f32 v54, 0x3f62ad3f, v116, -v52
	v_fmac_f32_e32 v52, 0x3f62ad3f, v116
	v_mul_f32_e32 v91, 0xbe750f2a, v113
	v_mul_f32_e32 v56, 0xbf29c268, v113
	v_add_f32_e32 v119, v24, v25
	v_mul_f32_e32 v25, 0xbe750f2a, v117
	v_dual_add_f32 v111, v69, v111 :: v_dual_mul_f32 v58, 0xbf29c268, v117
	v_fma_f32 v24, 0xbf788fa5, v116, -v91
	v_mul_f32_e32 v53, 0x3eedf032, v117
	s_delay_alu instid0(VALU_DEP_2)
	v_add_f32_e32 v69, v24, v57
	v_fma_f32 v57, 0xbf3f9e67, v116, -v56
	v_fmac_f32_e32 v56, 0xbf3f9e67, v116
	v_fmamk_f32 v24, v119, 0xbf788fa5, v25
	v_fmac_f32_e32 v91, 0xbf788fa5, v116
	v_fmamk_f32 v55, v119, 0x3f62ad3f, v53
	v_fma_f32 v53, 0x3f62ad3f, v119, -v53
	s_delay_alu instid0(VALU_DEP_4) | instskip(NEXT) | instid1(VALU_DEP_4)
	v_add_f32_e32 v70, v24, v59
	v_dual_add_f32 v24, v91, v101 :: v_dual_add_f32 v91, v54, v100
	v_add_f32_e32 v54, v52, v99
	v_fmamk_f32 v52, v119, 0xbf3f9e67, v58
	v_dual_mul_f32 v59, 0x3f52af12, v113 :: v_dual_add_f32 v92, v55, v104
	v_add_f32_e32 v55, v53, v103
	v_dual_add_f32 v99, v57, v106 :: v_dual_mul_f32 v106, 0xbf6f5d39, v117
	s_delay_alu instid0(VALU_DEP_4) | instskip(SKIP_4) | instid1(VALU_DEP_4)
	v_add_f32_e32 v100, v52, v118
	v_fma_f32 v25, 0xbf788fa5, v119, -v25
	v_fma_f32 v53, 0xbf3f9e67, v119, -v58
	;; [unrolled: 1-line block ×3, first 2 shown]
	v_mul_f32_e32 v58, 0x3f52af12, v117
	v_dual_add_f32 v52, v56, v107 :: v_dual_add_f32 v25, v25, v102
	s_delay_alu instid0(VALU_DEP_4) | instskip(NEXT) | instid1(VALU_DEP_3)
	v_add_f32_e32 v53, v53, v90
	v_dual_add_f32 v101, v57, v108 :: v_dual_fmamk_f32 v56, v119, 0x3f116cb1, v58
	v_fmac_f32_e32 v59, 0x3f116cb1, v116
	v_fma_f32 v57, 0x3f116cb1, v119, -v58
	v_mul_f32_e32 v90, 0xbf6f5d39, v113
	v_fma_f32 v107, 0xbeb58ec6, v119, -v106
	v_add_f32_e32 v102, v56, v109
	s_delay_alu instid0(VALU_DEP_4) | instskip(NEXT) | instid1(VALU_DEP_4)
	v_dual_add_f32 v58, v59, v71 :: v_dual_add_f32 v59, v57, v89
	v_fma_f32 v56, 0xbeb58ec6, v116, -v90
	v_fmamk_f32 v57, v119, 0xbeb58ec6, v106
	v_fmac_f32_e32 v90, 0xbeb58ec6, v116
	v_mul_f32_e32 v71, 0x3f7e222b, v113
	v_mul_f32_e32 v89, 0x3f7e222b, v117
	s_delay_alu instid0(VALU_DEP_4) | instskip(NEXT) | instid1(VALU_DEP_4)
	v_dual_add_f32 v103, v56, v110 :: v_dual_add_f32 v104, v57, v67
	v_add_f32_e32 v56, v90, v112
	s_delay_alu instid0(VALU_DEP_4) | instskip(NEXT) | instid1(VALU_DEP_4)
	v_fma_f32 v57, 0x3df6dbef, v116, -v71
	v_fmamk_f32 v67, v119, 0x3df6dbef, v89
	v_fmac_f32_e32 v71, 0x3df6dbef, v116
	v_fma_f32 v90, 0x3df6dbef, v119, -v89
	s_delay_alu instid0(VALU_DEP_3) | instskip(NEXT) | instid1(VALU_DEP_2)
	v_dual_add_f32 v105, v57, v105 :: v_dual_add_f32 v106, v67, v111
	v_dual_add_f32 v89, v71, v114 :: v_dual_add_f32 v90, v90, v120
	v_add_f32_e32 v57, v107, v115
	ds_store_2addr_b64 v93, v[65:66], v[69:70] offset1:91
	ds_store_2addr_b64 v63, v[91:92], v[99:100] offset0:54 offset1:145
	ds_store_2addr_b64 v64, v[101:102], v[103:104] offset0:108 offset1:199
	;; [unrolled: 1-line block ×5, first 2 shown]
	ds_store_b64 v93, v[24:25] offset:8736
	global_wb scope:SCOPE_SE
	s_wait_dscnt 0x0
	s_barrier_signal -1
	s_barrier_wait -1
	global_inv scope:SCOPE_SE
	s_clause 0x6
	global_load_b64 v[61:62], v[72:73], off offset:9464
	global_load_b64 v[65:66], v60, s[0:1] offset:1352
	global_load_b64 v[69:70], v60, s[0:1] offset:2704
	;; [unrolled: 1-line block ×6, first 2 shown]
	ds_load_2addr_b64 v[99:102], v93 offset1:169
	ds_load_2addr_b64 v[103:106], v64 offset0:82 offset1:251
	ds_load_2addr_b64 v[107:110], v68 offset0:36 offset1:205
	ds_load_b64 v[117:118], v93 offset:8112
	s_wait_loadcnt_dscnt 0x603
	v_mul_f32_e32 v63, v99, v62
	s_wait_loadcnt 0x5
	v_mul_f32_e32 v121, v102, v66
	v_mul_f32_e32 v67, v101, v66
	s_wait_loadcnt_dscnt 0x302
	v_mul_f32_e32 v123, v106, v92
	v_mul_f32_e32 v120, v105, v92
	s_wait_loadcnt_dscnt 0x201
	v_mul_f32_e32 v124, v108, v112
	s_wait_loadcnt 0x1
	v_dual_mul_f32 v92, v107, v112 :: v_dual_mul_f32 v125, v110, v114
	v_mul_f32_e32 v112, v109, v114
	s_wait_loadcnt_dscnt 0x0
	v_dual_mul_f32 v114, v117, v116 :: v_dual_mul_f32 v119, v100, v62
	v_mul_f32_e32 v122, v104, v70
	v_dual_mul_f32 v71, v103, v70 :: v_dual_mul_f32 v126, v118, v116
	s_delay_alu instid0(VALU_DEP_3) | instskip(NEXT) | instid1(VALU_DEP_4)
	v_fmac_f32_e32 v114, v118, v115
	v_fma_f32 v62, v99, v61, -v119
	v_fmac_f32_e32 v63, v100, v61
	v_fma_f32 v66, v101, v65, -v121
	;; [unrolled: 2-line block ×7, first 2 shown]
	ds_store_2addr_b64 v93, v[62:63], v[66:67] offset1:169
	ds_store_2addr_b64 v64, v[70:71], v[119:120] offset0:82 offset1:251
	ds_store_2addr_b64 v68, v[91:92], v[111:112] offset0:36 offset1:205
	ds_store_b64 v93, v[113:114] offset:8112
	s_and_saveexec_b32 s2, vcc_lo
	s_cbranch_execz .LBB0_9
; %bb.8:
	s_wait_alu 0xfffe
	v_add_co_u32 v60, s0, s0, v60
	s_wait_alu 0xf1ff
	v_add_co_ci_u32_e64 v61, null, s1, 0, s0
	s_clause 0x6
	global_load_b64 v[65:66], v[60:61], off offset:728
	global_load_b64 v[69:70], v[60:61], off offset:2080
	;; [unrolled: 1-line block ×7, first 2 shown]
	v_add_nc_u32_e32 v119, 0x200, v93
	v_add_nc_u32_e32 v121, 0x1600, v93
	ds_load_2addr_b64 v[60:63], v119 offset0:27 offset1:196
	s_wait_loadcnt_dscnt 0x600
	v_dual_mul_f32 v117, v61, v66 :: v_dual_add_nc_u32 v120, 0xc00, v93
	ds_load_2addr_b64 v[99:102], v120 offset0:45 offset1:214
	ds_load_2addr_b64 v[103:106], v121 offset0:63 offset1:232
	ds_load_b64 v[115:116], v93 offset:8840
	v_mul_f32_e32 v67, v60, v66
	s_wait_loadcnt 0x5
	v_mul_f32_e32 v122, v63, v70
	v_mul_f32_e32 v71, v62, v70
	v_fma_f32 v66, v60, v65, -v117
	s_delay_alu instid0(VALU_DEP_3)
	v_fma_f32 v70, v62, v69, -v122
	s_wait_loadcnt_dscnt 0x402
	v_mul_f32_e32 v123, v100, v92
	v_mul_f32_e32 v118, v99, v92
	s_wait_loadcnt 0x3
	v_mul_f32_e32 v124, v102, v108
	v_mul_f32_e32 v92, v101, v108
	s_wait_loadcnt_dscnt 0x201
	v_mul_f32_e32 v108, v103, v110
	s_wait_loadcnt 0x1
	v_dual_mul_f32 v125, v104, v110 :: v_dual_mul_f32 v126, v106, v112
	s_wait_loadcnt_dscnt 0x0
	v_dual_mul_f32 v110, v105, v112 :: v_dual_mul_f32 v127, v116, v114
	v_dual_mul_f32 v112, v115, v114 :: v_dual_fmac_f32 v67, v61, v65
	v_dual_fmac_f32 v71, v63, v69 :: v_dual_fmac_f32 v118, v100, v91
	v_fma_f32 v117, v99, v91, -v123
	v_fma_f32 v91, v101, v107, -v124
	v_fmac_f32_e32 v92, v102, v107
	v_fma_f32 v107, v103, v109, -v125
	v_fmac_f32_e32 v108, v104, v109
	;; [unrolled: 2-line block ×4, first 2 shown]
	ds_store_2addr_b64 v119, v[66:67], v[70:71] offset0:27 offset1:196
	ds_store_2addr_b64 v120, v[117:118], v[91:92] offset0:45 offset1:214
	;; [unrolled: 1-line block ×3, first 2 shown]
	ds_store_b64 v93, v[111:112] offset:8840
.LBB0_9:
	s_wait_alu 0xfffe
	s_or_b32 exec_lo, exec_lo, s2
	global_wb scope:SCOPE_SE
	s_wait_dscnt 0x0
	s_barrier_signal -1
	s_barrier_wait -1
	global_inv scope:SCOPE_SE
	ds_load_2addr_b64 v[60:63], v93 offset1:169
	ds_load_2addr_b64 v[64:67], v64 offset0:82 offset1:251
	ds_load_2addr_b64 v[68:71], v68 offset0:36 offset1:205
	ds_load_b64 v[91:92], v93 offset:8112
	s_and_saveexec_b32 s0, vcc_lo
	s_cbranch_execz .LBB0_11
; %bb.10:
	v_lshl_add_u32 v24, v94, 3, v95
	s_delay_alu instid0(VALU_DEP_1)
	v_add_nc_u32_e32 v25, 0x800, v24
	v_add_nc_u32_e32 v26, 0x1000, v24
	;; [unrolled: 1-line block ×3, first 2 shown]
	ds_load_b64 v[89:90], v93 offset:728
	ds_load_2addr_b64 v[56:59], v25 offset0:4 offset1:173
	ds_load_2addr_b64 v[52:55], v26 offset0:86 offset1:255
	;; [unrolled: 1-line block ×3, first 2 shown]
.LBB0_11:
	s_wait_alu 0xfffe
	s_or_b32 exec_lo, exec_lo, s0
	s_wait_dscnt 0x0
	v_dual_add_f32 v99, v62, v91 :: v_dual_add_f32 v100, v63, v92
	v_dual_sub_f32 v62, v62, v91 :: v_dual_sub_f32 v63, v63, v92
	v_dual_add_f32 v91, v64, v70 :: v_dual_add_f32 v92, v65, v71
	v_dual_sub_f32 v64, v64, v70 :: v_dual_sub_f32 v65, v65, v71
	v_dual_add_f32 v70, v66, v68 :: v_dual_add_f32 v71, v67, v69
	v_dual_sub_f32 v66, v68, v66 :: v_dual_sub_f32 v67, v69, v67
	s_delay_alu instid0(VALU_DEP_4) | instskip(SKIP_1) | instid1(VALU_DEP_4)
	v_dual_add_f32 v68, v91, v99 :: v_dual_add_f32 v69, v92, v100
	v_dual_sub_f32 v101, v91, v99 :: v_dual_sub_f32 v102, v92, v100
	v_dual_sub_f32 v99, v99, v70 :: v_dual_sub_f32 v100, v100, v71
	;; [unrolled: 1-line block ×3, first 2 shown]
	v_dual_add_f32 v103, v66, v64 :: v_dual_add_f32 v104, v67, v65
	v_dual_sub_f32 v105, v66, v64 :: v_dual_sub_f32 v106, v67, v65
	v_dual_sub_f32 v64, v64, v62 :: v_dual_add_f32 v69, v71, v69
	v_dual_add_f32 v68, v70, v68 :: v_dual_sub_f32 v65, v65, v63
	v_dual_sub_f32 v66, v62, v66 :: v_dual_sub_f32 v67, v63, v67
	v_dual_add_f32 v62, v103, v62 :: v_dual_add_f32 v63, v104, v63
	s_delay_alu instid0(VALU_DEP_3)
	v_dual_add_f32 v60, v60, v68 :: v_dual_add_f32 v61, v61, v69
	v_dual_mul_f32 v70, 0x3f4a47b2, v99 :: v_dual_mul_f32 v71, 0x3f4a47b2, v100
	v_dual_mul_f32 v99, 0x3d64c772, v91 :: v_dual_mul_f32 v100, 0x3d64c772, v92
	;; [unrolled: 1-line block ×4, first 2 shown]
	v_dual_fmamk_f32 v68, v68, 0xbf955555, v60 :: v_dual_fmamk_f32 v69, v69, 0xbf955555, v61
	v_dual_fmamk_f32 v91, v91, 0x3d64c772, v70 :: v_dual_fmamk_f32 v92, v92, 0x3d64c772, v71
	v_fma_f32 v99, 0x3f3bfb3b, v101, -v99
	v_fma_f32 v100, 0x3f3bfb3b, v102, -v100
	v_fma_f32 v70, 0xbf3bfb3b, v101, -v70
	v_fma_f32 v71, 0xbf3bfb3b, v102, -v71
	v_dual_fmamk_f32 v101, v66, 0xbeae86e6, v103 :: v_dual_fmamk_f32 v102, v67, 0xbeae86e6, v104
	v_fma_f32 v103, 0xbf5ff5aa, v64, -v103
	v_fma_f32 v104, 0xbf5ff5aa, v65, -v104
	;; [unrolled: 1-line block ×4, first 2 shown]
	v_dual_add_f32 v91, v91, v68 :: v_dual_add_f32 v92, v92, v69
	v_dual_fmac_f32 v101, 0xbee1c552, v62 :: v_dual_fmac_f32 v102, 0xbee1c552, v63
	v_dual_add_f32 v99, v99, v68 :: v_dual_add_f32 v100, v100, v69
	v_dual_add_f32 v70, v70, v68 :: v_dual_add_f32 v71, v71, v69
	v_dual_fmac_f32 v103, 0xbee1c552, v62 :: v_dual_fmac_f32 v106, 0xbee1c552, v63
	v_dual_fmac_f32 v105, 0xbee1c552, v62 :: v_dual_fmac_f32 v104, 0xbee1c552, v63
	v_dual_add_f32 v62, v91, v102 :: v_dual_sub_f32 v63, v92, v101
	s_delay_alu instid0(VALU_DEP_2) | instskip(NEXT) | instid1(VALU_DEP_3)
	v_dual_add_f32 v64, v106, v70 :: v_dual_sub_f32 v65, v71, v105
	v_dual_sub_f32 v66, v99, v104 :: v_dual_sub_f32 v69, v100, v103
	v_dual_add_f32 v67, v103, v100 :: v_dual_add_f32 v68, v104, v99
	v_dual_sub_f32 v70, v70, v106 :: v_dual_add_f32 v71, v105, v71
	v_dual_sub_f32 v91, v91, v102 :: v_dual_add_f32 v92, v101, v92
	global_wb scope:SCOPE_SE
	s_barrier_signal -1
	s_barrier_wait -1
	global_inv scope:SCOPE_SE
	ds_store_2addr_b64 v97, v[60:61], v[62:63] offset1:1
	ds_store_2addr_b64 v97, v[64:65], v[66:67] offset0:2 offset1:3
	ds_store_2addr_b64 v97, v[68:69], v[70:71] offset0:4 offset1:5
	ds_store_b64 v97, v[91:92] offset:48
	s_and_saveexec_b32 s0, vcc_lo
	s_cbranch_execz .LBB0_13
; %bb.12:
	v_dual_sub_f32 v60, v54, v52 :: v_dual_add_f32 v63, v27, v57
	v_dual_sub_f32 v61, v58, v24 :: v_dual_sub_f32 v62, v56, v26
	v_add_f32_e32 v64, v53, v55
	v_add_f32_e32 v66, v25, v59
	;; [unrolled: 1-line block ×3, first 2 shown]
	s_delay_alu instid0(VALU_DEP_4)
	v_sub_f32_e32 v65, v60, v61
	v_sub_f32_e32 v67, v62, v60
	v_add_f32_e32 v56, v26, v56
	v_add_f32_e32 v26, v60, v61
	v_dual_add_f32 v24, v24, v58 :: v_dual_sub_f32 v55, v55, v53
	v_dual_mul_f32 v60, 0x3f08b237, v65 :: v_dual_add_f32 v65, v66, v63
	v_sub_f32_e32 v54, v63, v64
	v_dual_sub_f32 v58, v64, v66 :: v_dual_sub_f32 v59, v59, v25
	s_delay_alu instid0(VALU_DEP_3) | instskip(NEXT) | instid1(VALU_DEP_4)
	v_fmamk_f32 v69, v67, 0xbeae86e6, v60
	v_dual_add_f32 v65, v64, v65 :: v_dual_add_f32 v68, v26, v62
	v_dual_add_f32 v64, v24, v56 :: v_dual_sub_f32 v27, v57, v27
	s_delay_alu instid0(VALU_DEP_4) | instskip(NEXT) | instid1(VALU_DEP_3)
	v_dual_mul_f32 v70, 0x3d64c772, v58 :: v_dual_sub_f32 v53, v55, v59
	v_dual_add_f32 v26, v90, v65 :: v_dual_sub_f32 v61, v61, v62
	v_sub_f32_e32 v62, v66, v63
	s_delay_alu instid0(VALU_DEP_3) | instskip(NEXT) | instid1(VALU_DEP_3)
	v_mul_f32_e32 v90, 0x3f08b237, v53
	v_fmamk_f32 v65, v65, 0xbf955555, v26
	v_fmac_f32_e32 v69, 0xbee1c552, v68
	v_dual_sub_f32 v71, v56, v52 :: v_dual_mul_f32 v54, 0x3f4a47b2, v54
	v_add_f32_e32 v64, v52, v64
	s_delay_alu instid0(VALU_DEP_2) | instskip(NEXT) | instid1(VALU_DEP_2)
	v_dual_sub_f32 v52, v52, v24 :: v_dual_mul_f32 v71, 0x3f4a47b2, v71
	v_dual_fmamk_f32 v58, v58, 0x3d64c772, v54 :: v_dual_add_f32 v25, v89, v64
	v_fma_f32 v54, 0xbf3bfb3b, v62, -v54
	s_delay_alu instid0(VALU_DEP_3) | instskip(NEXT) | instid1(VALU_DEP_3)
	v_fmamk_f32 v57, v52, 0x3d64c772, v71
	v_dual_add_f32 v89, v58, v65 :: v_dual_fmamk_f32 v58, v64, 0xbf955555, v25
	v_sub_f32_e32 v64, v27, v55
	s_delay_alu instid0(VALU_DEP_4) | instskip(NEXT) | instid1(VALU_DEP_3)
	v_dual_add_f32 v55, v55, v59 :: v_dual_add_f32 v66, v54, v65
	v_add_f32_e32 v53, v69, v89
	s_delay_alu instid0(VALU_DEP_4) | instskip(SKIP_3) | instid1(VALU_DEP_3)
	v_add_f32_e32 v91, v57, v58
	v_mul_f32_e32 v57, 0xbf5ff5aa, v61
	v_mul_f32_e32 v52, 0x3d64c772, v52
	v_fma_f32 v54, 0x3f3bfb3b, v62, -v70
	v_fma_f32 v63, 0x3eae86e6, v67, -v57
	s_delay_alu instid0(VALU_DEP_1)
	v_fmac_f32_e32 v63, 0xbee1c552, v68
	v_sub_f32_e32 v24, v24, v56
	v_sub_f32_e32 v56, v59, v27
	v_fma_f32 v59, 0xbf5ff5aa, v61, -v60
	v_add_f32_e32 v27, v55, v27
	v_sub_f32_e32 v61, v66, v63
	v_fma_f32 v55, 0xbf3bfb3b, v24, -v71
	v_fmamk_f32 v92, v64, 0xbeae86e6, v90
	v_fmac_f32_e32 v59, 0xbee1c552, v68
	v_mul_f32_e32 v57, 0xbf5ff5aa, v56
	v_fma_f32 v56, 0xbf5ff5aa, v56, -v90
	v_add_f32_e32 v67, v55, v58
	v_add_f32_e32 v55, v63, v66
	v_fma_f32 v24, 0x3f3bfb3b, v24, -v52
	v_add_f32_e32 v52, v54, v65
	v_fma_f32 v64, 0x3eae86e6, v64, -v57
	v_fmac_f32_e32 v92, 0xbee1c552, v27
	v_fmac_f32_e32 v56, 0xbee1c552, v27
	v_add_f32_e32 v24, v24, v58
	v_sub_f32_e32 v57, v52, v59
	v_dual_fmac_f32 v64, 0xbee1c552, v27 :: v_dual_sub_f32 v63, v89, v69
	v_add_f32_e32 v59, v59, v52
	v_add_f32_e32 v62, v91, v92
	v_lshl_add_u32 v27, v96, 3, v95
	s_delay_alu instid0(VALU_DEP_4)
	v_sub_f32_e32 v54, v67, v64
	v_sub_f32_e32 v58, v24, v56
	v_add_f32_e32 v60, v64, v67
	v_add_f32_e32 v56, v56, v24
	v_sub_f32_e32 v52, v91, v92
	ds_store_2addr_b64 v27, v[25:26], v[62:63] offset1:1
	ds_store_2addr_b64 v27, v[60:61], v[58:59] offset0:2 offset1:3
	ds_store_2addr_b64 v27, v[56:57], v[54:55] offset0:4 offset1:5
	ds_store_b64 v27, v[52:53] offset:48
.LBB0_13:
	s_wait_alu 0xfffe
	s_or_b32 exec_lo, exec_lo, s0
	global_wb scope:SCOPE_SE
	s_wait_dscnt 0x0
	s_barrier_signal -1
	s_barrier_wait -1
	global_inv scope:SCOPE_SE
	ds_load_2addr_b64 v[53:56], v93 offset1:91
	v_add_nc_u32_e32 v52, 0x400, v93
	v_add_nc_u32_e32 v25, 0x800, v93
	;; [unrolled: 1-line block ×3, first 2 shown]
	s_mov_b32 s2, 0x43156c6a
	s_mov_b32 s3, 0x3f4bb2f6
	s_wait_dscnt 0x0
	v_mul_f32_e32 v71, v21, v56
	v_mul_f32_e32 v21, v21, v55
	ds_load_2addr_b64 v[57:60], v52 offset0:54 offset1:145
	ds_load_2addr_b64 v[61:64], v25 offset0:108 offset1:199
	v_add_nc_u32_e32 v27, 0x1000, v93
	v_dual_fmac_f32 v71, v20, v55 :: v_dual_add_nc_u32 v26, 0x1800, v93
	v_fma_f32 v20, v20, v56, -v21
	ds_load_b64 v[69:70], v93 offset:8736
	s_wait_dscnt 0x2
	v_mul_f32_e32 v21, v23, v58
	v_mul_f32_e32 v23, v23, v57
	;; [unrolled: 1-line block ×3, first 2 shown]
	s_delay_alu instid0(VALU_DEP_3) | instskip(NEXT) | instid1(VALU_DEP_3)
	v_dual_mul_f32 v56, v17, v59 :: v_dual_fmac_f32 v21, v22, v57
	v_fma_f32 v22, v22, v58, -v23
	s_delay_alu instid0(VALU_DEP_3) | instskip(NEXT) | instid1(VALU_DEP_3)
	v_fmac_f32_e32 v55, v16, v59
	v_fma_f32 v23, v16, v60, -v56
	s_wait_dscnt 0x1
	v_mul_f32_e32 v16, v9, v63
	ds_load_2addr_b64 v[65:68], v27 offset0:34 offset1:125
	ds_load_2addr_b64 v[89:92], v24 offset0:88 offset1:179
	;; [unrolled: 1-line block ×3, first 2 shown]
	v_mul_f32_e32 v95, v19, v62
	v_mul_f32_e32 v19, v19, v61
	;; [unrolled: 1-line block ×3, first 2 shown]
	v_add_f32_e32 v56, v54, v20
	v_fma_f32 v16, v8, v64, -v16
	v_fmac_f32_e32 v95, v18, v61
	v_fma_f32 v18, v18, v62, -v19
	v_add_f32_e32 v19, v53, v71
	global_wb scope:SCOPE_SE
	s_wait_dscnt 0x0
	s_barrier_signal -1
	s_barrier_wait -1
	global_inv scope:SCOPE_SE
	v_mul_f32_e32 v9, v11, v66
	v_mul_f32_e32 v11, v11, v65
	s_delay_alu instid0(VALU_DEP_2) | instskip(NEXT) | instid1(VALU_DEP_2)
	v_fmac_f32_e32 v9, v10, v65
	v_fma_f32 v10, v10, v66, -v11
	v_add_f32_e32 v11, v19, v21
	v_add_f32_e32 v19, v56, v22
	v_dual_mul_f32 v56, v3, v90 :: v_dual_fmac_f32 v17, v8, v63
	v_mul_f32_e32 v8, v1, v68
	v_mul_f32_e32 v1, v1, v67
	v_add_f32_e32 v57, v11, v55
	s_delay_alu instid0(VALU_DEP_4) | instskip(NEXT) | instid1(VALU_DEP_4)
	v_dual_add_f32 v19, v19, v23 :: v_dual_fmac_f32 v56, v2, v89
	v_fmac_f32_e32 v8, v0, v67
	s_delay_alu instid0(VALU_DEP_4) | instskip(NEXT) | instid1(VALU_DEP_4)
	v_fma_f32 v11, v0, v68, -v1
	v_dual_mul_f32 v0, v3, v89 :: v_dual_add_f32 v1, v57, v95
	s_delay_alu instid0(VALU_DEP_4) | instskip(SKIP_1) | instid1(VALU_DEP_3)
	v_add_f32_e32 v3, v19, v18
	v_mul_f32_e32 v19, v13, v92
	v_fma_f32 v2, v2, v90, -v0
	v_mul_f32_e32 v0, v13, v91
	v_add_f32_e32 v1, v1, v17
	v_add_f32_e32 v3, v3, v16
	v_fmac_f32_e32 v19, v12, v91
	v_mul_f32_e32 v13, v15, v100
	v_fma_f32 v12, v12, v92, -v0
	s_delay_alu instid0(VALU_DEP_4) | instskip(SKIP_1) | instid1(VALU_DEP_2)
	v_dual_add_f32 v0, v1, v9 :: v_dual_add_f32 v1, v3, v10
	v_mul_f32_e32 v3, v15, v99
	v_dual_fmac_f32 v13, v14, v99 :: v_dual_add_f32 v0, v0, v8
	s_delay_alu instid0(VALU_DEP_2) | instskip(SKIP_1) | instid1(VALU_DEP_3)
	v_fma_f32 v3, v14, v100, -v3
	v_mul_f32_e32 v14, v7, v69
	v_dual_mul_f32 v7, v7, v70 :: v_dual_add_f32 v0, v0, v56
	s_delay_alu instid0(VALU_DEP_2) | instskip(NEXT) | instid1(VALU_DEP_1)
	v_fma_f32 v14, v6, v70, -v14
	v_dual_fmac_f32 v7, v6, v69 :: v_dual_sub_f32 v6, v20, v14
	v_add_f32_e32 v20, v20, v14
	s_delay_alu instid0(VALU_DEP_2) | instskip(NEXT) | instid1(VALU_DEP_3)
	v_dual_sub_f32 v58, v71, v7 :: v_dual_mul_f32 v15, v5, v102
	v_mul_f32_e32 v64, 0xbf7e222b, v6
	s_delay_alu instid0(VALU_DEP_3) | instskip(SKIP_1) | instid1(VALU_DEP_4)
	v_mul_f32_e32 v70, 0xbeb58ec6, v20
	v_mul_f32_e32 v66, 0x3df6dbef, v20
	v_dual_mul_f32 v90, 0xbf3f9e67, v20 :: v_dual_fmac_f32 v15, v4, v101
	v_dual_add_f32 v0, v0, v19 :: v_dual_mul_f32 v57, 0xbeedf032, v6
	s_delay_alu instid0(VALU_DEP_3) | instskip(SKIP_1) | instid1(VALU_DEP_4)
	v_dual_fmamk_f32 v68, v58, 0x3f7e222b, v66 :: v_dual_add_f32 v1, v1, v11
	v_dual_fmac_f32 v66, 0xbf7e222b, v58 :: v_dual_mul_f32 v5, v5, v101
	v_fmamk_f32 v92, v58, 0x3f29c268, v90
	s_delay_alu instid0(VALU_DEP_3) | instskip(NEXT) | instid1(VALU_DEP_3)
	v_dual_add_f32 v68, v54, v68 :: v_dual_add_f32 v1, v1, v2
	v_add_f32_e32 v66, v54, v66
	s_delay_alu instid0(VALU_DEP_4) | instskip(NEXT) | instid1(VALU_DEP_4)
	v_fma_f32 v4, v4, v102, -v5
	v_dual_add_f32 v5, v71, v7 :: v_dual_add_f32 v92, v54, v92
	s_delay_alu instid0(VALU_DEP_4) | instskip(SKIP_1) | instid1(VALU_DEP_3)
	v_dual_add_f32 v1, v1, v12 :: v_dual_add_f32 v0, v0, v13
	v_fmac_f32_e32 v90, 0xbf29c268, v58
	v_fmamk_f32 v65, v5, 0x3df6dbef, v64
	v_fma_f32 v64, 0x3df6dbef, v5, -v64
	v_fmamk_f32 v59, v5, 0x3f62ad3f, v57
	v_mul_f32_e32 v67, 0xbf6f5d39, v6
	v_mul_f32_e32 v89, 0xbf29c268, v6
	v_add_f32_e32 v90, v54, v90
	v_dual_add_f32 v64, v53, v64 :: v_dual_fmamk_f32 v71, v58, 0x3f6f5d39, v70
	v_dual_fmac_f32 v70, 0xbf6f5d39, v58 :: v_dual_add_f32 v1, v1, v3
	v_dual_add_f32 v0, v0, v15 :: v_dual_mul_f32 v61, 0x3f116cb1, v20
	s_delay_alu instid0(VALU_DEP_2) | instskip(NEXT) | instid1(VALU_DEP_2)
	v_dual_fmamk_f32 v69, v5, 0xbeb58ec6, v67 :: v_dual_add_f32 v70, v54, v70
	v_dual_add_f32 v1, v1, v4 :: v_dual_add_f32 v0, v0, v7
	v_add_f32_e32 v7, v53, v59
	v_dual_mul_f32 v59, 0xbf52af12, v6 :: v_dual_add_f32 v100, v21, v15
	v_dual_mul_f32 v6, 0xbe750f2a, v6 :: v_dual_add_f32 v71, v54, v71
	v_fma_f32 v67, 0xbeb58ec6, v5, -v67
	s_delay_alu instid0(VALU_DEP_3) | instskip(SKIP_1) | instid1(VALU_DEP_4)
	v_fmamk_f32 v62, v5, 0x3f116cb1, v59
	v_fma_f32 v59, 0x3f116cb1, v5, -v59
	v_fmamk_f32 v96, v5, 0xbf788fa5, v6
	v_fmamk_f32 v91, v5, 0xbf3f9e67, v89
	v_fma_f32 v89, 0xbf3f9e67, v5, -v89
	v_dual_mul_f32 v60, 0x3f62ad3f, v20 :: v_dual_add_f32 v1, v1, v14
	v_mul_f32_e32 v20, 0xbf788fa5, v20
	v_add_f32_e32 v96, v53, v96
	v_fma_f32 v57, 0x3f62ad3f, v5, -v57
	v_fma_f32 v5, 0xbf788fa5, v5, -v6
	v_dual_sub_f32 v6, v21, v15 :: v_dual_sub_f32 v97, v22, v4
	v_add_f32_e32 v4, v22, v4
	v_dual_fmamk_f32 v14, v58, 0x3eedf032, v60 :: v_dual_add_f32 v89, v53, v89
	v_fmac_f32_e32 v60, 0xbeedf032, v58
	s_delay_alu instid0(VALU_DEP_4) | instskip(NEXT) | instid1(VALU_DEP_3)
	v_mul_f32_e32 v101, 0xbf52af12, v97
	v_dual_mul_f32 v21, 0x3f116cb1, v4 :: v_dual_add_f32 v14, v54, v14
	v_add_f32_e32 v57, v53, v57
	v_fmamk_f32 v99, v58, 0x3e750f2a, v20
	s_delay_alu instid0(VALU_DEP_4)
	v_fmamk_f32 v15, v100, 0x3f116cb1, v101
	v_fmac_f32_e32 v20, 0xbe750f2a, v58
	v_add_f32_e32 v60, v54, v60
	v_add_f32_e32 v62, v53, v62
	;; [unrolled: 1-line block ×4, first 2 shown]
	v_fmamk_f32 v15, v6, 0x3f52af12, v21
	v_fmamk_f32 v63, v58, 0x3f52af12, v61
	v_dual_fmac_f32 v61, 0xbf52af12, v58 :: v_dual_add_f32 v20, v54, v20
	v_mul_f32_e32 v58, 0xbeb58ec6, v4
	s_delay_alu instid0(VALU_DEP_3) | instskip(NEXT) | instid1(VALU_DEP_3)
	v_dual_add_f32 v14, v15, v14 :: v_dual_add_f32 v63, v54, v63
	v_add_f32_e32 v61, v54, v61
	v_fma_f32 v54, 0x3f116cb1, v100, -v101
	v_add_f32_e32 v59, v53, v59
	v_fmac_f32_e32 v21, 0xbf52af12, v6
	v_add_f32_e32 v67, v53, v67
	s_delay_alu instid0(VALU_DEP_4) | instskip(SKIP_4) | instid1(VALU_DEP_4)
	v_dual_add_f32 v91, v53, v91 :: v_dual_add_f32 v54, v54, v57
	v_fmamk_f32 v57, v6, 0x3f6f5d39, v58
	v_add_f32_e32 v5, v53, v5
	v_dual_add_f32 v21, v21, v60 :: v_dual_mul_f32 v60, 0xbe750f2a, v97
	v_add_f32_e32 v65, v53, v65
	v_add_f32_e32 v57, v57, v63
	v_mul_f32_e32 v63, 0xbf788fa5, v4
	v_add_f32_e32 v69, v53, v69
	v_dual_mul_f32 v53, 0xbf6f5d39, v97 :: v_dual_fmac_f32 v58, 0xbf6f5d39, v6
	v_mul_f32_e32 v99, 0xbf3f9e67, v4
	s_delay_alu instid0(VALU_DEP_2) | instskip(SKIP_1) | instid1(VALU_DEP_2)
	v_fmamk_f32 v15, v100, 0xbeb58ec6, v53
	v_fma_f32 v53, 0xbeb58ec6, v100, -v53
	v_dual_add_f32 v58, v58, v61 :: v_dual_add_f32 v15, v15, v62
	s_delay_alu instid0(VALU_DEP_2) | instskip(SKIP_2) | instid1(VALU_DEP_3)
	v_dual_fmamk_f32 v62, v100, 0xbf788fa5, v60 :: v_dual_add_f32 v53, v53, v59
	v_mul_f32_e32 v59, 0x3f29c268, v97
	v_fma_f32 v60, 0xbf788fa5, v100, -v60
	v_add_f32_e32 v61, v62, v65
	v_fmamk_f32 v62, v6, 0x3e750f2a, v63
	s_delay_alu instid0(VALU_DEP_4) | instskip(SKIP_2) | instid1(VALU_DEP_4)
	v_fmamk_f32 v65, v100, 0xbf3f9e67, v59
	v_fma_f32 v59, 0xbf3f9e67, v100, -v59
	v_dual_fmac_f32 v63, 0xbe750f2a, v6 :: v_dual_add_f32 v60, v60, v64
	v_add_f32_e32 v62, v62, v68
	s_delay_alu instid0(VALU_DEP_3) | instskip(NEXT) | instid1(VALU_DEP_3)
	v_dual_mul_f32 v68, 0x3df6dbef, v4 :: v_dual_add_f32 v59, v59, v67
	v_dual_add_f32 v63, v63, v66 :: v_dual_add_f32 v64, v65, v69
	v_mul_f32_e32 v4, 0x3f62ad3f, v4
	s_delay_alu instid0(VALU_DEP_3) | instskip(SKIP_2) | instid1(VALU_DEP_2)
	v_fmamk_f32 v67, v6, 0xbf7e222b, v68
	v_fmac_f32_e32 v68, 0x3f7e222b, v6
	v_mul_f32_e32 v66, 0x3f7e222b, v97
	v_dual_add_f32 v68, v68, v90 :: v_dual_fmamk_f32 v65, v6, 0xbf29c268, v99
	s_delay_alu instid0(VALU_DEP_2) | instskip(SKIP_2) | instid1(VALU_DEP_4)
	v_fmamk_f32 v69, v100, 0x3df6dbef, v66
	v_fma_f32 v66, 0x3df6dbef, v100, -v66
	v_fmac_f32_e32 v99, 0x3f29c268, v6
	v_add_f32_e32 v65, v65, v71
	v_mul_f32_e32 v71, 0x3eedf032, v97
	s_delay_alu instid0(VALU_DEP_4) | instskip(SKIP_2) | instid1(VALU_DEP_4)
	v_dual_add_f32 v69, v69, v91 :: v_dual_add_f32 v66, v66, v89
	v_sub_f32_e32 v89, v23, v3
	v_add_f32_e32 v3, v23, v3
	v_fmamk_f32 v91, v100, 0x3f62ad3f, v71
	v_add_f32_e32 v67, v67, v92
	v_add_f32_e32 v92, v55, v13
	v_fma_f32 v23, 0x3f62ad3f, v100, -v71
	s_delay_alu instid0(VALU_DEP_4) | instskip(SKIP_4) | instid1(VALU_DEP_4)
	v_dual_mul_f32 v71, 0xbf788fa5, v3 :: v_dual_add_f32 v90, v91, v96
	v_mul_f32_e32 v96, 0xbf7e222b, v89
	v_fmamk_f32 v91, v6, 0xbeedf032, v4
	v_fmac_f32_e32 v4, 0x3eedf032, v6
	v_dual_sub_f32 v6, v55, v13 :: v_dual_mul_f32 v55, 0x3df6dbef, v3
	v_fmamk_f32 v13, v92, 0x3df6dbef, v96
	s_delay_alu instid0(VALU_DEP_3) | instskip(SKIP_2) | instid1(VALU_DEP_4)
	v_dual_add_f32 v5, v23, v5 :: v_dual_add_f32 v4, v4, v20
	v_mul_f32_e32 v20, 0xbe750f2a, v89
	v_fma_f32 v23, 0x3df6dbef, v92, -v96
	v_add_f32_e32 v7, v13, v7
	v_fmamk_f32 v13, v6, 0x3f7e222b, v55
	v_fmac_f32_e32 v55, 0xbf7e222b, v6
	v_add_f32_e32 v22, v91, v22
	v_dual_add_f32 v23, v23, v54 :: v_dual_fmamk_f32 v54, v6, 0x3e750f2a, v71
	s_delay_alu instid0(VALU_DEP_4)
	v_dual_add_f32 v13, v13, v14 :: v_dual_fmamk_f32 v14, v92, 0xbf788fa5, v20
	v_fmac_f32_e32 v71, 0xbe750f2a, v6
	v_add_f32_e32 v21, v55, v21
	v_mul_f32_e32 v55, 0x3f6f5d39, v89
	v_mul_f32_e32 v91, 0x3f62ad3f, v3
	v_add_f32_e32 v14, v14, v15
	v_fma_f32 v15, 0xbf788fa5, v92, -v20
	v_add_f32_e32 v20, v54, v57
	v_fmamk_f32 v54, v92, 0xbeb58ec6, v55
	v_fma_f32 v55, 0xbeb58ec6, v92, -v55
	v_mul_f32_e32 v57, 0xbeb58ec6, v3
	v_add_f32_e32 v15, v15, v53
	v_dual_add_f32 v53, v71, v58 :: v_dual_mul_f32 v58, 0x3eedf032, v89
	s_delay_alu instid0(VALU_DEP_4) | instskip(NEXT) | instid1(VALU_DEP_2)
	v_dual_add_f32 v55, v55, v60 :: v_dual_add_f32 v54, v54, v61
	v_fmamk_f32 v71, v92, 0x3f62ad3f, v58
	v_fma_f32 v58, 0x3f62ad3f, v92, -v58
	s_delay_alu instid0(VALU_DEP_2) | instskip(SKIP_1) | instid1(VALU_DEP_3)
	v_add_f32_e32 v60, v71, v64
	v_mul_f32_e32 v64, 0x3f116cb1, v3
	v_add_f32_e32 v58, v58, v59
	v_mul_f32_e32 v3, 0xbf3f9e67, v3
	v_mul_f32_e32 v71, 0xbf29c268, v89
	s_delay_alu instid0(VALU_DEP_4) | instskip(NEXT) | instid1(VALU_DEP_1)
	v_fmamk_f32 v59, v6, 0x3f52af12, v64
	v_dual_fmac_f32 v64, 0xbf52af12, v6 :: v_dual_add_f32 v59, v59, v67
	s_delay_alu instid0(VALU_DEP_1)
	v_dual_add_f32 v64, v64, v68 :: v_dual_fmamk_f32 v61, v6, 0xbf6f5d39, v57
	v_fmac_f32_e32 v57, 0x3f6f5d39, v6
	v_fmamk_f32 v68, v6, 0x3f29c268, v3
	v_fmac_f32_e32 v3, 0xbf29c268, v6
	v_fmamk_f32 v67, v92, 0xbf3f9e67, v71
	v_dual_add_f32 v61, v61, v62 :: v_dual_fmamk_f32 v62, v6, 0xbeedf032, v91
	v_dual_fmac_f32 v91, 0x3eedf032, v6 :: v_dual_sub_f32 v6, v95, v19
	v_add_f32_e32 v57, v57, v63
	v_mul_f32_e32 v63, 0xbf52af12, v89
	s_delay_alu instid0(VALU_DEP_4) | instskip(SKIP_1) | instid1(VALU_DEP_3)
	v_add_f32_e32 v62, v62, v65
	v_dual_add_f32 v22, v68, v22 :: v_dual_add_f32 v3, v3, v4
	v_fmamk_f32 v65, v92, 0x3f116cb1, v63
	v_fma_f32 v63, 0x3f116cb1, v92, -v63
	s_delay_alu instid0(VALU_DEP_2) | instskip(NEXT) | instid1(VALU_DEP_2)
	v_add_f32_e32 v65, v65, v69
	v_dual_add_f32 v63, v63, v66 :: v_dual_sub_f32 v66, v18, v12
	v_dual_add_f32 v69, v95, v19 :: v_dual_add_f32 v12, v18, v12
	v_fma_f32 v18, 0xbf3f9e67, v92, -v71
	v_add_f32_e32 v70, v99, v70
	s_delay_alu instid0(VALU_DEP_4) | instskip(NEXT) | instid1(VALU_DEP_4)
	v_mul_f32_e32 v89, 0xbf6f5d39, v66
	v_mul_f32_e32 v71, 0xbeb58ec6, v12
	;; [unrolled: 1-line block ×3, first 2 shown]
	s_delay_alu instid0(VALU_DEP_3) | instskip(NEXT) | instid1(VALU_DEP_1)
	v_fmamk_f32 v19, v69, 0xbeb58ec6, v89
	v_add_f32_e32 v4, v19, v7
	v_fma_f32 v19, 0xbeb58ec6, v69, -v89
	v_fmamk_f32 v7, v6, 0x3f6f5d39, v71
	v_fmac_f32_e32 v71, 0xbf6f5d39, v6
	v_mul_f32_e32 v89, 0x3df6dbef, v12
	s_delay_alu instid0(VALU_DEP_4)
	v_add_f32_e32 v19, v19, v23
	v_fmamk_f32 v23, v6, 0xbf29c268, v68
	v_dual_fmac_f32 v68, 0x3f29c268, v6 :: v_dual_add_f32 v5, v18, v5
	v_dual_mul_f32 v18, 0x3f29c268, v66 :: v_dual_add_f32 v7, v7, v13
	v_add_f32_e32 v21, v71, v21
	v_mul_f32_e32 v71, 0x3eedf032, v66
	s_delay_alu instid0(VALU_DEP_3) | instskip(NEXT) | instid1(VALU_DEP_1)
	v_fmamk_f32 v13, v69, 0xbf3f9e67, v18
	v_add_f32_e32 v13, v13, v14
	v_fma_f32 v14, 0xbf3f9e67, v69, -v18
	v_add_f32_e32 v18, v23, v20
	v_dual_fmamk_f32 v20, v69, 0x3f62ad3f, v71 :: v_dual_mul_f32 v23, 0x3f62ad3f, v12
	s_delay_alu instid0(VALU_DEP_3) | instskip(SKIP_1) | instid1(VALU_DEP_3)
	v_dual_add_f32 v14, v14, v15 :: v_dual_add_f32 v15, v68, v53
	v_mul_f32_e32 v53, 0xbf7e222b, v66
	v_add_f32_e32 v20, v20, v54
	s_delay_alu instid0(VALU_DEP_4) | instskip(SKIP_4) | instid1(VALU_DEP_4)
	v_fmamk_f32 v54, v6, 0xbeedf032, v23
	v_fma_f32 v68, 0x3f62ad3f, v69, -v71
	v_fmac_f32_e32 v23, 0x3eedf032, v6
	v_fmamk_f32 v71, v69, 0x3df6dbef, v53
	v_fma_f32 v53, 0x3df6dbef, v69, -v53
	v_add_f32_e32 v55, v68, v55
	s_delay_alu instid0(VALU_DEP_4) | instskip(NEXT) | instid1(VALU_DEP_4)
	v_add_f32_e32 v23, v23, v57
	v_dual_add_f32 v57, v71, v60 :: v_dual_fmamk_f32 v60, v6, 0x3f7e222b, v89
	v_mul_f32_e32 v68, 0xbf788fa5, v12
	v_mul_f32_e32 v12, 0x3f116cb1, v12
	v_dual_add_f32 v54, v54, v61 :: v_dual_mul_f32 v61, 0x3e750f2a, v66
	s_delay_alu instid0(VALU_DEP_4) | instskip(NEXT) | instid1(VALU_DEP_4)
	v_add_f32_e32 v60, v60, v62
	v_dual_add_f32 v53, v53, v58 :: v_dual_fmamk_f32 v58, v6, 0xbe750f2a, v68
	v_mul_f32_e32 v66, 0x3f52af12, v66
	s_delay_alu instid0(VALU_DEP_4) | instskip(SKIP_2) | instid1(VALU_DEP_4)
	v_fmamk_f32 v62, v69, 0xbf788fa5, v61
	v_fma_f32 v61, 0xbf788fa5, v69, -v61
	v_fmac_f32_e32 v68, 0x3e750f2a, v6
	v_dual_add_f32 v58, v58, v59 :: v_dual_fmamk_f32 v59, v69, 0x3f116cb1, v66
	v_fmac_f32_e32 v89, 0xbf7e222b, v6
	s_delay_alu instid0(VALU_DEP_4)
	v_add_f32_e32 v61, v61, v63
	v_sub_f32_e32 v63, v16, v2
	v_add_f32_e32 v67, v67, v90
	v_add_f32_e32 v2, v16, v2
	v_fma_f32 v16, 0x3f116cb1, v69, -v66
	v_add_f32_e32 v64, v68, v64
	v_mul_f32_e32 v68, 0xbf29c268, v63
	v_add_f32_e32 v62, v62, v65
	v_fmamk_f32 v65, v6, 0xbf52af12, v12
	v_dual_add_f32 v5, v16, v5 :: v_dual_mul_f32 v16, 0x3f7e222b, v63
	v_add_f32_e32 v59, v59, v67
	v_dual_add_f32 v67, v17, v56 :: v_dual_fmac_f32 v12, 0x3f52af12, v6
	v_sub_f32_e32 v6, v17, v56
	v_mul_f32_e32 v56, 0xbf3f9e67, v2
	s_delay_alu instid0(VALU_DEP_3) | instskip(NEXT) | instid1(VALU_DEP_4)
	v_dual_add_f32 v22, v65, v22 :: v_dual_fmamk_f32 v17, v67, 0xbf3f9e67, v68
	v_add_f32_e32 v3, v12, v3
	v_mul_f32_e32 v65, 0x3df6dbef, v2
	s_delay_alu instid0(VALU_DEP_4) | instskip(SKIP_3) | instid1(VALU_DEP_4)
	v_fmamk_f32 v12, v6, 0x3f29c268, v56
	v_fmac_f32_e32 v56, 0xbf29c268, v6
	v_add_f32_e32 v4, v17, v4
	v_fma_f32 v17, 0xbf3f9e67, v67, -v68
	v_dual_mul_f32 v66, 0xbf788fa5, v2 :: v_dual_add_f32 v7, v12, v7
	s_delay_alu instid0(VALU_DEP_2) | instskip(SKIP_3) | instid1(VALU_DEP_4)
	v_dual_fmamk_f32 v12, v67, 0x3df6dbef, v16 :: v_dual_add_f32 v17, v17, v19
	v_add_f32_e32 v19, v56, v21
	v_fmamk_f32 v21, v6, 0xbf7e222b, v65
	v_mul_f32_e32 v56, 0xbf52af12, v63
	v_add_f32_e32 v12, v12, v13
	v_fma_f32 v13, 0x3df6dbef, v67, -v16
	v_fmac_f32_e32 v65, 0x3f7e222b, v6
	v_add_f32_e32 v16, v21, v18
	v_dual_fmamk_f32 v18, v67, 0x3f116cb1, v56 :: v_dual_mul_f32 v21, 0x3f116cb1, v2
	s_delay_alu instid0(VALU_DEP_4) | instskip(NEXT) | instid1(VALU_DEP_4)
	v_add_f32_e32 v13, v13, v14
	v_add_f32_e32 v14, v65, v15
	s_delay_alu instid0(VALU_DEP_3) | instskip(NEXT) | instid1(VALU_DEP_4)
	v_dual_mul_f32 v15, 0x3e750f2a, v63 :: v_dual_add_f32 v18, v18, v20
	v_fmamk_f32 v20, v6, 0x3f52af12, v21
	v_fma_f32 v56, 0x3f116cb1, v67, -v56
	v_fmac_f32_e32 v21, 0xbf52af12, v6
	s_delay_alu instid0(VALU_DEP_4)
	v_fmamk_f32 v65, v67, 0xbf788fa5, v15
	v_add_f32_e32 v70, v91, v70
	v_add_f32_e32 v20, v20, v54
	v_dual_add_f32 v54, v56, v55 :: v_dual_fmamk_f32 v55, v6, 0xbe750f2a, v66
	v_mul_f32_e32 v56, 0x3eedf032, v63
	v_add_f32_e32 v21, v21, v23
	v_add_f32_e32 v23, v65, v57
	v_fma_f32 v15, 0xbf788fa5, v67, -v15
	v_mul_f32_e32 v57, 0x3f62ad3f, v2
	v_add_f32_e32 v55, v55, v60
	v_fmamk_f32 v60, v67, 0x3f62ad3f, v56
	v_fma_f32 v56, 0x3f62ad3f, v67, -v56
	v_add_f32_e32 v70, v89, v70
	v_dual_fmac_f32 v66, 0x3e750f2a, v6 :: v_dual_add_f32 v53, v15, v53
	v_fmamk_f32 v15, v6, 0xbeedf032, v57
	v_mul_f32_e32 v63, 0xbf6f5d39, v63
	v_dual_fmac_f32 v57, 0x3eedf032, v6 :: v_dual_add_f32 v56, v56, v61
	v_sub_f32_e32 v61, v10, v11
	v_add_f32_e32 v65, v66, v70
	v_add_f32_e32 v60, v60, v62
	;; [unrolled: 1-line block ×3, first 2 shown]
	v_dual_fmamk_f32 v15, v67, 0xbeb58ec6, v63 :: v_dual_mul_f32 v2, 0xbeb58ec6, v2
	v_add_f32_e32 v57, v57, v64
	v_add_f32_e32 v62, v9, v8
	v_mul_f32_e32 v64, 0xbe750f2a, v61
	v_add_f32_e32 v66, v10, v11
	v_fma_f32 v10, 0xbeb58ec6, v67, -v63
	v_sub_f32_e32 v63, v9, v8
	v_mul_f32_e32 v9, 0x3eedf032, v61
	v_mul_f32_e32 v11, 0xbf29c268, v61
	;; [unrolled: 1-line block ×3, first 2 shown]
	v_add_f32_e32 v68, v10, v5
	v_dual_mul_f32 v10, 0x3f62ad3f, v66 :: v_dual_add_f32 v59, v15, v59
	v_fmamk_f32 v15, v6, 0x3f6f5d39, v2
	v_fmac_f32_e32 v2, 0xbf6f5d39, v6
	s_delay_alu instid0(VALU_DEP_2) | instskip(NEXT) | instid1(VALU_DEP_2)
	v_dual_fmamk_f32 v6, v62, 0xbf788fa5, v64 :: v_dual_add_f32 v67, v15, v22
	v_add_f32_e32 v69, v2, v3
	s_delay_alu instid0(VALU_DEP_2)
	v_dual_add_f32 v2, v6, v4 :: v_dual_fmamk_f32 v3, v63, 0x3e750f2a, v8
	v_fmac_f32_e32 v8, 0xbe750f2a, v63
	v_fmamk_f32 v6, v62, 0x3f62ad3f, v9
	v_mul_f32_e32 v15, 0xbf3f9e67, v66
	v_fma_f32 v4, 0xbf788fa5, v62, -v64
	v_add_f32_e32 v3, v3, v7
	v_add_f32_e32 v5, v8, v19
	v_dual_fmamk_f32 v7, v63, 0xbeedf032, v10 :: v_dual_add_f32 v6, v6, v12
	v_fma_f32 v8, 0x3f62ad3f, v62, -v9
	v_fmac_f32_e32 v10, 0x3eedf032, v63
	s_delay_alu instid0(VALU_DEP_3) | instskip(SKIP_1) | instid1(VALU_DEP_3)
	v_dual_fmamk_f32 v12, v62, 0xbf3f9e67, v11 :: v_dual_add_f32 v7, v7, v16
	v_mul_f32_e32 v16, 0x3f52af12, v61
	v_dual_add_f32 v8, v8, v13 :: v_dual_add_f32 v9, v10, v14
	s_delay_alu instid0(VALU_DEP_3)
	v_add_f32_e32 v10, v12, v18
	v_fmamk_f32 v12, v63, 0x3f29c268, v15
	v_fma_f32 v13, 0xbf3f9e67, v62, -v11
	v_fmac_f32_e32 v15, 0xbf29c268, v63
	v_fmamk_f32 v14, v62, 0x3f116cb1, v16
	v_mul_f32_e32 v18, 0xbf6f5d39, v61
	v_dual_add_f32 v4, v4, v17 :: v_dual_mul_f32 v17, 0x3f116cb1, v66
	v_dual_add_f32 v11, v12, v20 :: v_dual_add_f32 v12, v13, v54
	v_dual_mul_f32 v54, 0x3df6dbef, v66 :: v_dual_add_f32 v13, v15, v21
	v_dual_mul_f32 v21, 0xbeb58ec6, v66 :: v_dual_add_f32 v14, v14, v23
	s_delay_alu instid0(VALU_DEP_4) | instskip(SKIP_2) | instid1(VALU_DEP_4)
	v_fmamk_f32 v15, v63, 0xbf52af12, v17
	v_fma_f32 v16, 0x3f116cb1, v62, -v16
	v_fmamk_f32 v19, v62, 0xbeb58ec6, v18
	v_fmamk_f32 v20, v63, 0x3f6f5d39, v21
	v_fma_f32 v22, 0xbeb58ec6, v62, -v18
	v_mul_f32_e32 v23, 0x3f7e222b, v61
	v_dual_add_f32 v15, v15, v55 :: v_dual_add_f32 v16, v16, v53
	s_delay_alu instid0(VALU_DEP_4) | instskip(NEXT) | instid1(VALU_DEP_4)
	v_dual_add_f32 v18, v19, v60 :: v_dual_add_f32 v19, v20, v58
	v_add_f32_e32 v20, v22, v56
	s_delay_alu instid0(VALU_DEP_4)
	v_fmamk_f32 v22, v62, 0x3df6dbef, v23
	v_fmamk_f32 v53, v63, 0xbf7e222b, v54
	v_fma_f32 v55, 0x3df6dbef, v62, -v23
	v_fmac_f32_e32 v54, 0x3f7e222b, v63
	v_fmac_f32_e32 v17, 0x3f52af12, v63
	v_fmac_f32_e32 v21, 0xbf6f5d39, v63
	v_add_f32_e32 v22, v22, v59
	v_add_f32_e32 v23, v53, v67
	v_dual_add_f32 v53, v55, v68 :: v_dual_add_f32 v54, v54, v69
	v_add_f32_e32 v17, v17, v65
	v_add_f32_e32 v21, v21, v57
	ds_store_2addr_b64 v98, v[0:1], v[2:3] offset1:7
	ds_store_2addr_b64 v98, v[6:7], v[10:11] offset0:14 offset1:21
	ds_store_2addr_b64 v98, v[14:15], v[18:19] offset0:28 offset1:35
	;; [unrolled: 1-line block ×5, first 2 shown]
	ds_store_b64 v98, v[4:5] offset:672
	global_wb scope:SCOPE_SE
	s_wait_dscnt 0x0
	s_barrier_signal -1
	s_barrier_wait -1
	global_inv scope:SCOPE_SE
	ds_load_2addr_b64 v[8:11], v93 offset1:91
	ds_load_2addr_b64 v[0:3], v52 offset0:54 offset1:145
	ds_load_2addr_b64 v[12:15], v25 offset0:108 offset1:199
	;; [unrolled: 1-line block ×5, first 2 shown]
	ds_load_b64 v[57:58], v93 offset:8736
	s_wait_dscnt 0x6
	v_mul_f32_e32 v59, v49, v11
	s_wait_dscnt 0x5
	v_dual_mul_f32 v4, v49, v10 :: v_dual_mul_f32 v5, v51, v0
	s_wait_dscnt 0x4
	s_delay_alu instid0(VALU_DEP_2) | instskip(NEXT) | instid1(VALU_DEP_2)
	v_dual_mul_f32 v6, v37, v15 :: v_dual_fmac_f32 v59, v48, v10
	v_fma_f32 v11, v48, v11, -v4
	s_delay_alu instid0(VALU_DEP_3) | instskip(SKIP_1) | instid1(VALU_DEP_4)
	v_fma_f32 v48, v50, v1, -v5
	v_dual_mul_f32 v49, v51, v1 :: v_dual_mul_f32 v10, v45, v3
	v_dual_mul_f32 v1, v47, v12 :: v_dual_fmac_f32 v6, v36, v14
	s_delay_alu instid0(VALU_DEP_4) | instskip(NEXT) | instid1(VALU_DEP_3)
	v_add_f32_e32 v5, v9, v11
	v_dual_fmac_f32 v49, v50, v0 :: v_dual_mul_f32 v0, v45, v2
	s_delay_alu instid0(VALU_DEP_4) | instskip(SKIP_2) | instid1(VALU_DEP_3)
	v_dual_mul_f32 v45, v47, v13 :: v_dual_fmac_f32 v10, v44, v2
	s_wait_dscnt 0x3
	v_mul_f32_e32 v2, v39, v17
	v_fma_f32 v44, v44, v3, -v0
	s_delay_alu instid0(VALU_DEP_3)
	v_fmac_f32_e32 v45, v46, v12
	v_fma_f32 v12, v46, v13, -v1
	s_wait_dscnt 0x2
	v_dual_mul_f32 v13, v31, v21 :: v_dual_mul_f32 v0, v37, v14
	v_dual_mul_f32 v14, v31, v20 :: v_dual_add_f32 v1, v8, v59
	v_fmac_f32_e32 v2, v38, v16
	s_wait_dscnt 0x0
	s_delay_alu instid0(VALU_DEP_3)
	v_dual_fmac_f32 v13, v30, v20 :: v_dual_mul_f32 v20, v35, v57
	v_fma_f32 v7, v36, v15, -v0
	v_mul_f32_e32 v0, v39, v16
	v_fma_f32 v14, v30, v21, -v14
	v_mul_f32_e32 v16, v41, v22
	v_mul_f32_e32 v21, v35, v58
	v_fma_f32 v20, v34, v58, -v20
	v_fma_f32 v4, v38, v17, -v0
	v_add_f32_e32 v0, v1, v49
	v_add_f32_e32 v1, v5, v48
	v_mul_f32_e32 v5, v29, v18
	v_mul_f32_e32 v15, v41, v23
	v_fma_f32 v16, v40, v23, -v16
	v_fmac_f32_e32 v21, v34, v57
	v_sub_f32_e32 v23, v11, v20
	v_add_f32_e32 v11, v11, v20
	v_mul_f32_e32 v3, v29, v19
	v_add_f32_e32 v1, v1, v44
	v_fma_f32 v5, v28, v19, -v5
	v_fmac_f32_e32 v15, v40, v22
	v_mul_f32_e32 v19, v33, v56
	v_mul_f32_e32 v22, v33, v55
	v_dual_sub_f32 v30, v59, v21 :: v_dual_mul_f32 v33, 0x3f116cb1, v11
	v_add_f32_e32 v1, v1, v12
	v_mul_f32_e32 v17, v43, v54
	s_delay_alu instid0(VALU_DEP_4)
	v_fma_f32 v22, v32, v56, -v22
	v_mul_f32_e32 v38, 0x3df6dbef, v11
	v_fmamk_f32 v35, v30, 0x3f52af12, v33
	v_add_f32_e32 v1, v1, v7
	v_fmac_f32_e32 v17, v42, v53
	v_fmac_f32_e32 v19, v32, v55
	v_mul_f32_e32 v32, 0x3f62ad3f, v11
	v_add_f32_e32 v35, v9, v35
	v_dual_fmac_f32 v3, v28, v18 :: v_dual_mul_f32 v18, v43, v53
	v_mul_f32_e32 v47, 0xbf3f9e67, v11
	v_mul_f32_e32 v29, 0xbeedf032, v23
	;; [unrolled: 1-line block ×4, first 2 shown]
	v_fma_f32 v18, v42, v54, -v18
	v_dual_sub_f32 v54, v48, v22 :: v_dual_add_f32 v1, v1, v4
	v_mul_f32_e32 v42, 0xbeb58ec6, v11
	v_mul_f32_e32 v11, 0xbf788fa5, v11
	;; [unrolled: 1-line block ×3, first 2 shown]
	s_delay_alu instid0(VALU_DEP_4) | instskip(SKIP_1) | instid1(VALU_DEP_4)
	v_dual_add_f32 v0, v0, v10 :: v_dual_add_f32 v1, v1, v5
	v_mul_f32_e32 v57, 0xbf52af12, v54
	v_fmamk_f32 v55, v30, 0x3e750f2a, v11
	v_fmac_f32_e32 v33, 0xbf52af12, v30
	s_delay_alu instid0(VALU_DEP_4)
	v_dual_fmamk_f32 v40, v30, 0x3f7e222b, v38 :: v_dual_add_f32 v1, v1, v14
	v_fmac_f32_e32 v38, 0xbf7e222b, v30
	v_fmamk_f32 v51, v30, 0x3f29c268, v47
	v_fmac_f32_e32 v11, 0xbe750f2a, v30
	v_add_f32_e32 v33, v9, v33
	v_add_f32_e32 v1, v1, v16
	;; [unrolled: 1-line block ×5, first 2 shown]
	s_delay_alu instid0(VALU_DEP_4) | instskip(NEXT) | instid1(VALU_DEP_1)
	v_add_f32_e32 v1, v1, v18
	v_add_f32_e32 v1, v1, v22
	;; [unrolled: 1-line block ×7, first 2 shown]
	v_mul_f32_e32 v55, 0xbf3f9e67, v22
	s_delay_alu instid0(VALU_DEP_4)
	v_fmamk_f32 v31, v28, 0x3f62ad3f, v29
	v_fma_f32 v29, 0x3f62ad3f, v28, -v29
	v_fmamk_f32 v37, v28, 0x3df6dbef, v36
	v_fma_f32 v36, 0x3df6dbef, v28, -v36
	v_fmamk_f32 v41, v28, 0xbeb58ec6, v39
	v_add_f32_e32 v20, v8, v31
	v_mul_f32_e32 v31, 0xbf52af12, v23
	v_mul_f32_e32 v23, 0xbe750f2a, v23
	v_fma_f32 v39, 0xbeb58ec6, v28, -v39
	v_fmamk_f32 v50, v28, 0xbf3f9e67, v46
	v_fma_f32 v46, 0xbf3f9e67, v28, -v46
	v_fmamk_f32 v34, v28, 0x3f116cb1, v31
	;; [unrolled: 2-line block ×3, first 2 shown]
	v_fma_f32 v23, 0xbf788fa5, v28, -v23
	v_add_f32_e32 v29, v8, v29
	v_add_f32_e32 v34, v8, v34
	v_add_f32_e32 v31, v8, v31
	v_add_f32_e32 v37, v8, v37
	v_add_f32_e32 v36, v8, v36
	v_add_f32_e32 v41, v8, v41
	v_add_f32_e32 v39, v8, v39
	v_add_f32_e32 v50, v8, v50
	v_add_f32_e32 v46, v8, v46
	v_add_f32_e32 v53, v8, v53
	v_add_f32_e32 v8, v8, v23
	v_dual_add_f32 v0, v0, v45 :: v_dual_fmamk_f32 v43, v30, 0x3f6f5d39, v42
	v_fmac_f32_e32 v42, 0xbf6f5d39, v30
	v_fmac_f32_e32 v47, 0xbf29c268, v30
	v_fmamk_f32 v28, v56, 0x3f116cb1, v57
	s_delay_alu instid0(VALU_DEP_4) | instskip(NEXT) | instid1(VALU_DEP_4)
	v_dual_add_f32 v0, v0, v6 :: v_dual_add_f32 v43, v9, v43
	v_add_f32_e32 v42, v9, v42
	s_delay_alu instid0(VALU_DEP_4) | instskip(SKIP_1) | instid1(VALU_DEP_4)
	v_add_f32_e32 v47, v9, v47
	v_mul_f32_e32 v23, 0xbf6f5d39, v54
	v_add_f32_e32 v0, v0, v2
	s_delay_alu instid0(VALU_DEP_1) | instskip(NEXT) | instid1(VALU_DEP_1)
	v_add_f32_e32 v0, v0, v3
	v_add_f32_e32 v0, v0, v13
	s_delay_alu instid0(VALU_DEP_1) | instskip(NEXT) | instid1(VALU_DEP_1)
	v_add_f32_e32 v0, v0, v15
	v_add_f32_e32 v0, v0, v17
	s_delay_alu instid0(VALU_DEP_1) | instskip(SKIP_1) | instid1(VALU_DEP_2)
	v_add_f32_e32 v0, v0, v19
	v_sub_f32_e32 v19, v49, v19
	v_dual_mul_f32 v49, 0xbeb58ec6, v22 :: v_dual_add_f32 v0, v0, v21
	v_fmamk_f32 v21, v30, 0x3eedf032, v32
	v_fmac_f32_e32 v32, 0xbeedf032, v30
	s_delay_alu instid0(VALU_DEP_2) | instskip(NEXT) | instid1(VALU_DEP_2)
	v_dual_mul_f32 v30, 0x3f116cb1, v22 :: v_dual_add_f32 v21, v9, v21
	v_add_f32_e32 v32, v9, v32
	v_add_f32_e32 v9, v9, v11
	s_delay_alu instid0(VALU_DEP_3) | instskip(SKIP_2) | instid1(VALU_DEP_3)
	v_dual_add_f32 v11, v28, v20 :: v_dual_fmamk_f32 v20, v19, 0x3f52af12, v30
	v_fma_f32 v28, 0x3f116cb1, v56, -v57
	v_fmac_f32_e32 v30, 0xbf52af12, v19
	v_add_f32_e32 v20, v20, v21
	v_fmamk_f32 v21, v56, 0xbeb58ec6, v23
	s_delay_alu instid0(VALU_DEP_3) | instskip(SKIP_2) | instid1(VALU_DEP_4)
	v_dual_add_f32 v28, v28, v29 :: v_dual_add_f32 v29, v30, v32
	v_fmamk_f32 v30, v19, 0x3f6f5d39, v49
	v_mul_f32_e32 v32, 0xbe750f2a, v54
	v_add_f32_e32 v21, v21, v34
	v_fma_f32 v23, 0xbeb58ec6, v56, -v23
	v_fmac_f32_e32 v49, 0xbf6f5d39, v19
	v_add_f32_e32 v30, v30, v35
	v_dual_fmamk_f32 v34, v56, 0xbf788fa5, v32 :: v_dual_mul_f32 v35, 0xbf788fa5, v22
	s_delay_alu instid0(VALU_DEP_4) | instskip(NEXT) | instid1(VALU_DEP_4)
	v_add_f32_e32 v23, v23, v31
	v_add_f32_e32 v31, v49, v33
	s_delay_alu instid0(VALU_DEP_3) | instskip(NEXT) | instid1(VALU_DEP_4)
	v_dual_mul_f32 v33, 0x3f29c268, v54 :: v_dual_add_f32 v34, v34, v37
	v_fmamk_f32 v37, v19, 0x3e750f2a, v35
	v_fmac_f32_e32 v35, 0xbe750f2a, v19
	v_fma_f32 v32, 0xbf788fa5, v56, -v32
	s_delay_alu instid0(VALU_DEP_4)
	v_fmamk_f32 v49, v56, 0xbf3f9e67, v33
	v_fma_f32 v33, 0xbf3f9e67, v56, -v33
	v_add_f32_e32 v37, v37, v40
	v_add_f32_e32 v35, v35, v38
	v_fmamk_f32 v38, v19, 0xbf29c268, v55
	v_mul_f32_e32 v40, 0x3f7e222b, v54
	v_add_f32_e32 v32, v32, v36
	v_dual_add_f32 v36, v49, v41 :: v_dual_mul_f32 v41, 0x3df6dbef, v22
	s_delay_alu instid0(VALU_DEP_3)
	v_dual_add_f32 v38, v38, v43 :: v_dual_fmamk_f32 v43, v56, 0x3df6dbef, v40
	v_mul_f32_e32 v49, 0x3eedf032, v54
	v_fma_f32 v40, 0x3df6dbef, v56, -v40
	v_fmac_f32_e32 v55, 0x3f29c268, v19
	v_add_f32_e32 v33, v33, v39
	v_fmamk_f32 v39, v19, 0xbf7e222b, v41
	v_add_f32_e32 v43, v43, v50
	v_fmac_f32_e32 v41, 0x3f7e222b, v19
	v_fmamk_f32 v50, v56, 0x3f62ad3f, v49
	v_add_f32_e32 v40, v40, v46
	v_sub_f32_e32 v46, v44, v18
	v_add_f32_e32 v42, v55, v42
	v_dual_add_f32 v39, v39, v51 :: v_dual_mul_f32 v22, 0x3f62ad3f, v22
	v_add_f32_e32 v41, v41, v47
	v_add_f32_e32 v47, v50, v53
	;; [unrolled: 1-line block ×3, first 2 shown]
	v_mul_f32_e32 v53, 0xbf7e222b, v46
	v_add_f32_e32 v18, v44, v18
	v_fmamk_f32 v50, v19, 0xbeedf032, v22
	v_fmac_f32_e32 v22, 0x3eedf032, v19
	s_delay_alu instid0(VALU_DEP_4) | instskip(NEXT) | instid1(VALU_DEP_4)
	v_dual_sub_f32 v10, v10, v17 :: v_dual_fmamk_f32 v17, v51, 0x3df6dbef, v53
	v_mul_f32_e32 v19, 0x3df6dbef, v18
	v_fma_f32 v44, 0x3f62ad3f, v56, -v49
	s_delay_alu instid0(VALU_DEP_4) | instskip(NEXT) | instid1(VALU_DEP_4)
	v_dual_add_f32 v9, v22, v9 :: v_dual_mul_f32 v22, 0xbe750f2a, v46
	v_add_f32_e32 v11, v17, v11
	s_delay_alu instid0(VALU_DEP_3) | instskip(SKIP_3) | instid1(VALU_DEP_4)
	v_dual_fmamk_f32 v17, v10, 0x3f7e222b, v19 :: v_dual_add_f32 v8, v44, v8
	v_fma_f32 v44, 0x3df6dbef, v51, -v53
	v_fmac_f32_e32 v19, 0xbf7e222b, v10
	v_mul_f32_e32 v49, 0xbf788fa5, v18
	v_dual_add_f32 v17, v17, v20 :: v_dual_fmamk_f32 v20, v51, 0xbf788fa5, v22
	s_delay_alu instid0(VALU_DEP_3) | instskip(NEXT) | instid1(VALU_DEP_3)
	v_dual_add_f32 v28, v44, v28 :: v_dual_add_f32 v19, v19, v29
	v_fmamk_f32 v29, v10, 0x3e750f2a, v49
	v_mul_f32_e32 v44, 0x3f6f5d39, v46
	s_delay_alu instid0(VALU_DEP_4) | instskip(SKIP_2) | instid1(VALU_DEP_4)
	v_add_f32_e32 v20, v20, v21
	v_fma_f32 v21, 0xbf788fa5, v51, -v22
	v_fmac_f32_e32 v49, 0xbe750f2a, v10
	v_dual_add_f32 v22, v29, v30 :: v_dual_fmamk_f32 v29, v51, 0xbeb58ec6, v44
	s_delay_alu instid0(VALU_DEP_3) | instskip(NEXT) | instid1(VALU_DEP_3)
	v_dual_mul_f32 v30, 0xbeb58ec6, v18 :: v_dual_add_f32 v21, v21, v23
	v_add_f32_e32 v23, v49, v31
	v_dual_mul_f32 v31, 0x3eedf032, v46 :: v_dual_add_f32 v48, v50, v48
	s_delay_alu instid0(VALU_DEP_3) | instskip(SKIP_2) | instid1(VALU_DEP_4)
	v_dual_add_f32 v29, v29, v34 :: v_dual_fmamk_f32 v34, v10, 0xbf6f5d39, v30
	v_fma_f32 v44, 0xbeb58ec6, v51, -v44
	v_fmac_f32_e32 v30, 0x3f6f5d39, v10
	v_dual_fmamk_f32 v49, v51, 0x3f62ad3f, v31 :: v_dual_mul_f32 v50, 0x3f62ad3f, v18
	s_delay_alu instid0(VALU_DEP_4) | instskip(NEXT) | instid1(VALU_DEP_4)
	v_add_f32_e32 v34, v34, v37
	v_add_f32_e32 v32, v44, v32
	s_delay_alu instid0(VALU_DEP_3) | instskip(NEXT) | instid1(VALU_DEP_4)
	v_dual_add_f32 v30, v30, v35 :: v_dual_add_f32 v35, v49, v36
	v_fmamk_f32 v36, v10, 0xbeedf032, v50
	v_mul_f32_e32 v37, 0xbf52af12, v46
	v_fma_f32 v31, 0x3f62ad3f, v51, -v31
	v_mul_f32_e32 v44, 0x3f116cb1, v18
	v_mul_f32_e32 v46, 0xbf29c268, v46
	v_add_f32_e32 v36, v36, v38
	v_fmamk_f32 v38, v51, 0x3f116cb1, v37
	v_add_f32_e32 v31, v31, v33
	v_fmamk_f32 v33, v10, 0x3f52af12, v44
	v_fma_f32 v37, 0x3f116cb1, v51, -v37
	v_fmac_f32_e32 v44, 0xbf52af12, v10
	v_mul_f32_e32 v18, 0xbf3f9e67, v18
	s_delay_alu instid0(VALU_DEP_4) | instskip(SKIP_4) | instid1(VALU_DEP_4)
	v_dual_fmac_f32 v50, 0x3eedf032, v10 :: v_dual_add_f32 v33, v33, v39
	v_fmamk_f32 v39, v51, 0xbf3f9e67, v46
	v_add_f32_e32 v37, v37, v40
	v_sub_f32_e32 v40, v12, v16
	v_dual_add_f32 v41, v44, v41 :: v_dual_add_f32 v44, v45, v15
	v_dual_add_f32 v39, v39, v47 :: v_dual_add_f32 v12, v12, v16
	s_delay_alu instid0(VALU_DEP_3) | instskip(SKIP_3) | instid1(VALU_DEP_4)
	v_dual_mul_f32 v47, 0xbf6f5d39, v40 :: v_dual_add_f32 v38, v38, v43
	v_fmamk_f32 v43, v10, 0x3f29c268, v18
	v_fma_f32 v16, 0xbf3f9e67, v51, -v46
	v_fmac_f32_e32 v18, 0xbf29c268, v10
	v_dual_sub_f32 v10, v45, v15 :: v_dual_fmamk_f32 v15, v44, 0xbeb58ec6, v47
	v_mul_f32_e32 v45, 0xbeb58ec6, v12
	s_delay_alu instid0(VALU_DEP_3) | instskip(NEXT) | instid1(VALU_DEP_3)
	v_dual_add_f32 v8, v16, v8 :: v_dual_add_f32 v9, v18, v9
	v_dual_mul_f32 v16, 0x3f29c268, v40 :: v_dual_add_f32 v11, v15, v11
	s_delay_alu instid0(VALU_DEP_3)
	v_fmamk_f32 v15, v10, 0x3f6f5d39, v45
	v_fma_f32 v18, 0xbeb58ec6, v44, -v47
	v_fmac_f32_e32 v45, 0xbf6f5d39, v10
	v_mul_f32_e32 v46, 0xbf3f9e67, v12
	v_mul_f32_e32 v47, 0x3df6dbef, v12
	v_add_f32_e32 v15, v15, v17
	v_dual_fmamk_f32 v17, v44, 0xbf3f9e67, v16 :: v_dual_add_f32 v18, v18, v28
	s_delay_alu instid0(VALU_DEP_4) | instskip(SKIP_2) | instid1(VALU_DEP_4)
	v_dual_add_f32 v19, v45, v19 :: v_dual_fmamk_f32 v28, v10, 0xbf29c268, v46
	v_mul_f32_e32 v45, 0x3eedf032, v40
	v_fma_f32 v16, 0xbf3f9e67, v44, -v16
	v_dual_fmac_f32 v46, 0x3f29c268, v10 :: v_dual_add_f32 v17, v17, v20
	s_delay_alu instid0(VALU_DEP_4) | instskip(NEXT) | instid1(VALU_DEP_4)
	v_add_f32_e32 v20, v28, v22
	v_fmamk_f32 v22, v44, 0x3f62ad3f, v45
	v_mul_f32_e32 v28, 0x3f62ad3f, v12
	s_delay_alu instid0(VALU_DEP_4) | instskip(NEXT) | instid1(VALU_DEP_3)
	v_dual_add_f32 v16, v16, v21 :: v_dual_add_f32 v21, v46, v23
	v_dual_mul_f32 v23, 0xbf7e222b, v40 :: v_dual_add_f32 v22, v22, v29
	s_delay_alu instid0(VALU_DEP_3) | instskip(SKIP_2) | instid1(VALU_DEP_4)
	v_fmamk_f32 v29, v10, 0xbeedf032, v28
	v_fmac_f32_e32 v28, 0x3eedf032, v10
	v_fma_f32 v45, 0x3f62ad3f, v44, -v45
	v_fmamk_f32 v46, v44, 0x3df6dbef, v23
	v_fma_f32 v23, 0x3df6dbef, v44, -v23
	v_add_f32_e32 v29, v29, v34
	v_add_f32_e32 v28, v28, v30
	v_fmamk_f32 v34, v10, 0x3f7e222b, v47
	v_dual_add_f32 v30, v46, v35 :: v_dual_mul_f32 v35, 0x3e750f2a, v40
	v_add_f32_e32 v32, v45, v32
	v_mul_f32_e32 v45, 0xbf788fa5, v12
	s_delay_alu instid0(VALU_DEP_4) | instskip(NEXT) | instid1(VALU_DEP_4)
	v_dual_add_f32 v34, v34, v36 :: v_dual_add_f32 v23, v23, v31
	v_fmamk_f32 v36, v44, 0xbf788fa5, v35
	v_fma_f32 v35, 0xbf788fa5, v44, -v35
	s_delay_alu instid0(VALU_DEP_4) | instskip(SKIP_2) | instid1(VALU_DEP_4)
	v_fmamk_f32 v31, v10, 0xbe750f2a, v45
	v_mul_f32_e32 v40, 0x3f52af12, v40
	v_fmac_f32_e32 v45, 0x3e750f2a, v10
	v_dual_add_f32 v36, v36, v38 :: v_dual_add_f32 v35, v35, v37
	v_sub_f32_e32 v37, v7, v14
	v_add_f32_e32 v31, v31, v33
	v_dual_fmamk_f32 v33, v44, 0x3f116cb1, v40 :: v_dual_mul_f32 v12, 0x3f116cb1, v12
	v_add_f32_e32 v38, v45, v41
	v_add_f32_e32 v41, v6, v13
	v_mul_f32_e32 v45, 0xbf29c268, v37
	v_add_f32_e32 v7, v7, v14
	v_fmac_f32_e32 v47, 0xbf7e222b, v10
	v_add_f32_e32 v33, v33, v39
	v_fmamk_f32 v39, v10, 0xbf52af12, v12
	v_fma_f32 v14, 0x3f116cb1, v44, -v40
	v_fmac_f32_e32 v12, 0x3f52af12, v10
	v_sub_f32_e32 v6, v6, v13
	v_dual_fmamk_f32 v10, v41, 0xbf3f9e67, v45 :: v_dual_mul_f32 v13, 0xbf3f9e67, v7
	s_delay_alu instid0(VALU_DEP_3) | instskip(SKIP_1) | instid1(VALU_DEP_3)
	v_dual_add_f32 v8, v14, v8 :: v_dual_add_f32 v9, v12, v9
	v_mul_f32_e32 v12, 0x3f7e222b, v37
	v_add_f32_e32 v10, v10, v11
	s_delay_alu instid0(VALU_DEP_4) | instskip(SKIP_3) | instid1(VALU_DEP_4)
	v_fmamk_f32 v11, v6, 0x3f29c268, v13
	v_fma_f32 v14, 0xbf3f9e67, v41, -v45
	v_fmac_f32_e32 v13, 0xbf29c268, v6
	v_dual_mul_f32 v40, 0x3df6dbef, v7 :: v_dual_add_f32 v43, v43, v48
	v_add_f32_e32 v11, v11, v15
	s_delay_alu instid0(VALU_DEP_4) | instskip(NEXT) | instid1(VALU_DEP_3)
	v_dual_fmamk_f32 v15, v41, 0x3df6dbef, v12 :: v_dual_add_f32 v14, v14, v18
	v_dual_add_f32 v13, v13, v19 :: v_dual_fmamk_f32 v18, v6, 0xbf7e222b, v40
	v_mul_f32_e32 v19, 0xbf52af12, v37
	v_fma_f32 v12, 0x3df6dbef, v41, -v12
	s_delay_alu instid0(VALU_DEP_4) | instskip(NEXT) | instid1(VALU_DEP_3)
	v_dual_fmac_f32 v40, 0x3f7e222b, v6 :: v_dual_add_f32 v15, v15, v17
	v_dual_add_f32 v17, v18, v20 :: v_dual_fmamk_f32 v18, v41, 0x3f116cb1, v19
	v_mul_f32_e32 v20, 0x3f116cb1, v7
	s_delay_alu instid0(VALU_DEP_4) | instskip(NEXT) | instid1(VALU_DEP_4)
	v_add_f32_e32 v12, v12, v16
	v_add_f32_e32 v16, v40, v21
	v_mul_f32_e32 v21, 0x3e750f2a, v37
	v_fma_f32 v19, 0x3f116cb1, v41, -v19
	v_dual_add_f32 v42, v50, v42 :: v_dual_add_f32 v39, v39, v43
	v_add_f32_e32 v18, v18, v22
	v_fmamk_f32 v22, v6, 0x3f52af12, v20
	v_fmac_f32_e32 v20, 0xbf52af12, v6
	v_dual_fmamk_f32 v40, v41, 0xbf788fa5, v21 :: v_dual_mul_f32 v43, 0xbf788fa5, v7
	v_add_f32_e32 v19, v19, v32
	v_fma_f32 v21, 0xbf788fa5, v41, -v21
	v_mul_f32_e32 v32, 0x3f62ad3f, v7
	v_add_f32_e32 v42, v47, v42
	v_add_f32_e32 v22, v22, v29
	;; [unrolled: 1-line block ×3, first 2 shown]
	v_dual_add_f32 v28, v40, v30 :: v_dual_fmamk_f32 v29, v6, 0xbe750f2a, v43
	v_mul_f32_e32 v30, 0x3eedf032, v37
	v_fmac_f32_e32 v43, 0x3e750f2a, v6
	v_add_f32_e32 v21, v21, v23
	v_fmamk_f32 v23, v6, 0xbeedf032, v32
	v_mul_f32_e32 v37, 0xbf6f5d39, v37
	v_add_f32_e32 v29, v29, v34
	v_fmamk_f32 v34, v41, 0x3f62ad3f, v30
	v_add_f32_e32 v40, v43, v42
	v_fma_f32 v30, 0x3f62ad3f, v41, -v30
	v_add_f32_e32 v23, v23, v31
	v_fmamk_f32 v31, v41, 0xbeb58ec6, v37
	v_dual_mul_f32 v7, 0xbeb58ec6, v7 :: v_dual_add_f32 v42, v4, v5
	v_fmac_f32_e32 v32, 0x3eedf032, v6
	v_dual_add_f32 v30, v30, v35 :: v_dual_sub_f32 v35, v4, v5
	s_delay_alu instid0(VALU_DEP_4) | instskip(NEXT) | instid1(VALU_DEP_4)
	v_add_f32_e32 v31, v31, v33
	v_fmamk_f32 v33, v6, 0x3f6f5d39, v7
	v_fma_f32 v4, 0xbeb58ec6, v41, -v37
	v_fmac_f32_e32 v7, 0xbf6f5d39, v6
	v_sub_f32_e32 v37, v2, v3
	v_dual_mul_f32 v5, 0xbf788fa5, v42 :: v_dual_add_f32 v34, v34, v36
	v_add_f32_e32 v32, v32, v38
	v_add_f32_e32 v36, v2, v3
	v_dual_mul_f32 v38, 0xbe750f2a, v35 :: v_dual_add_f32 v41, v7, v9
	s_delay_alu instid0(VALU_DEP_4) | instskip(SKIP_1) | instid1(VALU_DEP_3)
	v_fmamk_f32 v3, v37, 0x3e750f2a, v5
	v_mul_f32_e32 v7, 0x3eedf032, v35
	v_dual_add_f32 v33, v33, v39 :: v_dual_fmamk_f32 v2, v36, 0xbf788fa5, v38
	v_add_f32_e32 v39, v4, v8
	v_fma_f32 v4, 0xbf788fa5, v36, -v38
	v_fmac_f32_e32 v5, 0xbe750f2a, v37
	v_mul_f32_e32 v9, 0x3f62ad3f, v42
	v_dual_add_f32 v3, v3, v11 :: v_dual_fmamk_f32 v6, v36, 0x3f62ad3f, v7
	v_dual_mul_f32 v11, 0xbf29c268, v35 :: v_dual_add_f32 v2, v2, v10
	s_delay_alu instid0(VALU_DEP_4) | instskip(NEXT) | instid1(VALU_DEP_4)
	v_dual_add_f32 v4, v4, v14 :: v_dual_add_f32 v5, v5, v13
	v_fmamk_f32 v8, v37, 0xbeedf032, v9
	s_delay_alu instid0(VALU_DEP_4) | instskip(SKIP_4) | instid1(VALU_DEP_4)
	v_add_f32_e32 v6, v6, v15
	v_fma_f32 v10, 0x3f62ad3f, v36, -v7
	v_fmac_f32_e32 v9, 0x3eedf032, v37
	v_dual_fmamk_f32 v13, v36, 0xbf3f9e67, v11 :: v_dual_mul_f32 v14, 0xbf3f9e67, v42
	v_mul_f32_e32 v15, 0x3f52af12, v35
	v_dual_add_f32 v7, v8, v17 :: v_dual_add_f32 v8, v10, v12
	s_delay_alu instid0(VALU_DEP_4) | instskip(NEXT) | instid1(VALU_DEP_4)
	v_add_f32_e32 v9, v9, v16
	v_fmamk_f32 v12, v37, 0x3f29c268, v14
	v_add_f32_e32 v10, v13, v18
	v_fma_f32 v13, 0xbf3f9e67, v36, -v11
	v_fmac_f32_e32 v14, 0xbf29c268, v37
	v_dual_fmamk_f32 v16, v36, 0x3f116cb1, v15 :: v_dual_mul_f32 v17, 0x3f116cb1, v42
	s_delay_alu instid0(VALU_DEP_3) | instskip(NEXT) | instid1(VALU_DEP_3)
	v_dual_add_f32 v11, v12, v22 :: v_dual_add_f32 v12, v13, v19
	v_add_f32_e32 v13, v14, v20
	s_delay_alu instid0(VALU_DEP_3) | instskip(NEXT) | instid1(VALU_DEP_4)
	v_add_f32_e32 v14, v16, v28
	v_fmamk_f32 v16, v37, 0xbf52af12, v17
	v_fma_f32 v18, 0x3f116cb1, v36, -v15
	v_mul_f32_e32 v19, 0xbf6f5d39, v35
	v_mul_f32_e32 v38, 0xbeb58ec6, v42
	s_delay_alu instid0(VALU_DEP_4) | instskip(NEXT) | instid1(VALU_DEP_4)
	v_dual_mul_f32 v22, 0x3f7e222b, v35 :: v_dual_add_f32 v15, v16, v29
	v_add_f32_e32 v16, v18, v21
	s_delay_alu instid0(VALU_DEP_4) | instskip(NEXT) | instid1(VALU_DEP_4)
	v_fma_f32 v21, 0xbeb58ec6, v36, -v19
	v_fmamk_f32 v20, v37, 0x3f6f5d39, v38
	v_mul_f32_e32 v29, 0x3df6dbef, v42
	v_fmamk_f32 v18, v36, 0xbeb58ec6, v19
	v_fma_f32 v28, 0x3df6dbef, v36, -v22
	v_fmac_f32_e32 v17, 0x3f52af12, v37
	v_dual_add_f32 v19, v20, v23 :: v_dual_add_f32 v20, v21, v30
	v_fmamk_f32 v21, v36, 0x3df6dbef, v22
	v_fmamk_f32 v23, v37, 0xbf7e222b, v29
	v_fmac_f32_e32 v29, 0x3f7e222b, v37
	v_fmac_f32_e32 v38, 0xbf6f5d39, v37
	v_add_f32_e32 v18, v18, v34
	s_delay_alu instid0(VALU_DEP_4) | instskip(NEXT) | instid1(VALU_DEP_4)
	v_dual_add_f32 v22, v21, v31 :: v_dual_add_f32 v23, v23, v33
	v_dual_add_f32 v28, v28, v39 :: v_dual_add_f32 v29, v29, v41
	v_add_f32_e32 v17, v17, v40
	v_add_f32_e32 v21, v38, v32
	ds_store_2addr_b64 v93, v[0:1], v[2:3] offset1:91
	ds_store_2addr_b64 v52, v[6:7], v[10:11] offset0:54 offset1:145
	ds_store_2addr_b64 v25, v[14:15], v[18:19] offset0:108 offset1:199
	;; [unrolled: 1-line block ×5, first 2 shown]
	ds_store_b64 v93, v[4:5] offset:8736
	global_wb scope:SCOPE_SE
	s_wait_dscnt 0x0
	s_barrier_signal -1
	s_barrier_wait -1
	global_inv scope:SCOPE_SE
	ds_load_2addr_b64 v[0:3], v93 offset1:169
	ds_load_2addr_b64 v[4:7], v25 offset0:82 offset1:251
	ds_load_2addr_b64 v[8:11], v24 offset0:36 offset1:205
	v_mad_co_u64_u32 v[28:29], null, s6, v74, 0
	v_mad_co_u64_u32 v[30:31], null, s4, v94, 0
	s_delay_alu instid0(VALU_DEP_1)
	v_mad_co_u64_u32 v[32:33], null, s7, v74, v[29:30]
	s_mul_u64 s[6:7], s[4:5], 0xa9
	s_wait_alu 0xfffe
	s_lshl_b64 s[6:7], s[6:7], 3
	s_wait_dscnt 0x2
	v_mul_f32_e32 v12, v82, v1
	v_dual_mul_f32 v13, v82, v0 :: v_dual_mul_f32 v14, v84, v3
	v_mul_f32_e32 v15, v84, v2
	s_wait_dscnt 0x0
	v_mul_f32_e32 v22, v80, v9
	v_fmac_f32_e32 v12, v81, v0
	v_fma_f32 v13, v81, v1, -v13
	v_fmac_f32_e32 v14, v83, v2
	v_fma_f32 v16, v83, v3, -v15
	v_mul_f32_e32 v18, v76, v5
	v_cvt_f64_f32_e32 v[0:1], v12
	v_cvt_f64_f32_e32 v[2:3], v13
	;; [unrolled: 1-line block ×3, first 2 shown]
	ds_load_b64 v[14:15], v93 offset:8112
	v_dual_mul_f32 v19, v76, v4 :: v_dual_mul_f32 v20, v78, v7
	v_dual_mul_f32 v21, v78, v6 :: v_dual_fmac_f32 v22, v79, v8
	v_mul_f32_e32 v8, v80, v8
	v_mul_f32_e32 v24, v86, v11
	v_dual_mul_f32 v25, v86, v10 :: v_dual_fmac_f32 v18, v75, v4
	v_fma_f32 v19, v75, v5, -v19
	v_fmac_f32_e32 v20, v77, v6
	v_fma_f32 v21, v77, v7, -v21
	v_fma_f32 v8, v79, v9, -v8
	v_fmac_f32_e32 v24, v85, v10
	v_fma_f32 v25, v85, v11, -v25
	v_cvt_f64_f32_e32 v[16:17], v16
	v_cvt_f64_f32_e32 v[4:5], v18
	;; [unrolled: 1-line block ×5, first 2 shown]
	s_wait_dscnt 0x0
	v_mul_f32_e32 v26, v88, v15
	v_mul_f32_e32 v27, v88, v14
	v_cvt_f64_f32_e32 v[22:23], v22
	v_cvt_f64_f32_e32 v[8:9], v8
	;; [unrolled: 1-line block ×3, first 2 shown]
	v_fmac_f32_e32 v26, v87, v14
	v_fma_f32 v27, v87, v15, -v27
	v_cvt_f64_f32_e32 v[14:15], v25
	v_mov_b32_e32 v29, v32
	v_mad_co_u64_u32 v[31:32], null, s5, v94, v[31:32]
	v_cvt_f64_f32_e32 v[24:25], v26
	v_cvt_f64_f32_e32 v[26:27], v27
	s_delay_alu instid0(VALU_DEP_4) | instskip(SKIP_3) | instid1(VALU_DEP_4)
	v_lshlrev_b64_e32 v[28:29], 3, v[28:29]
	v_mul_f64_e32 v[0:1], s[2:3], v[0:1]
	v_mul_f64_e32 v[2:3], s[2:3], v[2:3]
	;; [unrolled: 1-line block ×3, first 2 shown]
	v_add_co_u32 v28, s0, s10, v28
	s_wait_alu 0xf1ff
	v_add_co_ci_u32_e64 v29, s0, s11, v29, s0
	v_mul_f64_e32 v[16:17], s[2:3], v[16:17]
	v_mul_f64_e32 v[4:5], s[2:3], v[4:5]
	;; [unrolled: 1-line block ×11, first 2 shown]
	v_cvt_f32_f64_e32 v0, v[0:1]
	v_cvt_f32_f64_e32 v1, v[2:3]
	v_lshlrev_b64_e32 v[2:3], 3, v[30:31]
	v_cvt_f32_f64_e32 v12, v[12:13]
	s_delay_alu instid0(VALU_DEP_2) | instskip(SKIP_1) | instid1(VALU_DEP_3)
	v_add_co_u32 v2, s0, v28, v2
	s_wait_alu 0xf1ff
	v_add_co_ci_u32_e64 v3, s0, v29, v3, s0
	v_cvt_f32_f64_e32 v13, v[16:17]
	v_cvt_f32_f64_e32 v4, v[4:5]
	;; [unrolled: 1-line block ×9, first 2 shown]
	s_wait_alu 0xfffe
	v_add_co_u32 v14, s0, v2, s6
	s_wait_alu 0xf1ff
	v_add_co_ci_u32_e64 v15, s0, s7, v3, s0
	v_cvt_f32_f64_e32 v10, v[24:25]
	v_cvt_f32_f64_e32 v11, v[26:27]
	v_add_co_u32 v18, s0, v14, s6
	s_wait_alu 0xf1ff
	v_add_co_ci_u32_e64 v19, s0, s7, v15, s0
	global_store_b64 v[2:3], v[0:1], off
	v_add_co_u32 v20, s0, v18, s6
	s_wait_alu 0xf1ff
	v_add_co_ci_u32_e64 v21, s0, s7, v19, s0
	s_delay_alu instid0(VALU_DEP_2) | instskip(SKIP_1) | instid1(VALU_DEP_2)
	v_add_co_u32 v22, s0, v20, s6
	s_wait_alu 0xf1ff
	v_add_co_ci_u32_e64 v23, s0, s7, v21, s0
	s_delay_alu instid0(VALU_DEP_2) | instskip(SKIP_1) | instid1(VALU_DEP_2)
	v_add_co_u32 v2, s0, v22, s6
	s_wait_alu 0xf1ff
	v_add_co_ci_u32_e64 v3, s0, s7, v23, s0
	global_store_b64 v[14:15], v[12:13], off
	v_add_co_u32 v0, s0, v2, s6
	s_wait_alu 0xf1ff
	v_add_co_ci_u32_e64 v1, s0, s7, v3, s0
	s_clause 0x2
	global_store_b64 v[18:19], v[4:5], off
	global_store_b64 v[20:21], v[6:7], off
	;; [unrolled: 1-line block ×5, first 2 shown]
	s_and_b32 exec_lo, exec_lo, vcc_lo
	s_cbranch_execz .LBB0_15
; %bb.14:
	s_clause 0x4
	global_load_b64 v[14:15], v[72:73], off offset:728
	global_load_b64 v[16:17], v[72:73], off offset:2080
	;; [unrolled: 1-line block ×5, first 2 shown]
	v_add_nc_u32_e32 v2, 0x200, v93
	v_mad_co_u64_u32 v[0:1], null, 0xffffe328, s4, v[0:1]
	s_mul_i32 s0, s5, 0xffffe328
	ds_load_2addr_b64 v[2:5], v2 offset0:27 offset1:196
	v_add_nc_u32_e32 v6, 0xc00, v93
	s_wait_alu 0xfffe
	s_sub_co_i32 s0, s0, s4
	s_wait_loadcnt_dscnt 0x400
	s_wait_alu 0xfffe
	v_dual_mul_f32 v24, v3, v15 :: v_dual_add_nc_u32 v1, s0, v1
	s_wait_loadcnt 0x3
	v_mul_f32_e32 v25, v5, v17
	v_dual_mul_f32 v15, v2, v15 :: v_dual_add_nc_u32 v10, 0x1600, v93
	s_delay_alu instid0(VALU_DEP_2)
	v_dual_fmac_f32 v24, v2, v14 :: v_dual_fmac_f32 v25, v4, v16
	ds_load_2addr_b64 v[6:9], v6 offset0:45 offset1:214
	ds_load_2addr_b64 v[10:13], v10 offset0:63 offset1:232
	v_mul_f32_e32 v17, v4, v17
	v_fma_f32 v14, v14, v3, -v15
	v_cvt_f64_f32_e32 v[2:3], v24
	s_wait_loadcnt_dscnt 0x201
	v_mul_f32_e32 v26, v7, v19
	v_mul_f32_e32 v19, v6, v19
	s_wait_loadcnt_dscnt 0x0
	v_dual_mul_f32 v27, v9, v21 :: v_dual_mul_f32 v28, v11, v23
	v_mul_f32_e32 v21, v8, v21
	v_mul_f32_e32 v23, v10, v23
	v_fma_f32 v15, v16, v5, -v17
	s_delay_alu instid0(VALU_DEP_4)
	v_dual_fmac_f32 v26, v6, v18 :: v_dual_fmac_f32 v27, v8, v20
	v_fma_f32 v16, v18, v7, -v19
	v_fma_f32 v18, v20, v9, -v21
	v_fmac_f32_e32 v28, v10, v22
	v_fma_f32 v22, v22, v11, -v23
	v_cvt_f64_f32_e32 v[4:5], v14
	v_cvt_f64_f32_e32 v[6:7], v25
	;; [unrolled: 1-line block ×9, first 2 shown]
	v_mul_f64_e32 v[2:3], s[2:3], v[2:3]
	v_mul_f64_e32 v[4:5], s[2:3], v[4:5]
	v_mul_f64_e32 v[6:7], s[2:3], v[6:7]
	v_mul_f64_e32 v[8:9], s[2:3], v[8:9]
	v_mul_f64_e32 v[10:11], s[2:3], v[10:11]
	v_mul_f64_e32 v[14:15], s[2:3], v[14:15]
	v_mul_f64_e32 v[16:17], s[2:3], v[16:17]
	v_mul_f64_e32 v[18:19], s[2:3], v[18:19]
	v_mul_f64_e32 v[20:21], s[2:3], v[20:21]
	v_mul_f64_e32 v[22:23], s[2:3], v[22:23]
	v_cvt_f32_f64_e32 v2, v[2:3]
	v_cvt_f32_f64_e32 v3, v[4:5]
	;; [unrolled: 1-line block ×10, first 2 shown]
	v_add_co_u32 v14, vcc_lo, v0, s6
	s_wait_alu 0xfffd
	v_add_co_ci_u32_e32 v15, vcc_lo, s7, v1, vcc_lo
	s_delay_alu instid0(VALU_DEP_2) | instskip(SKIP_1) | instid1(VALU_DEP_2)
	v_add_co_u32 v16, vcc_lo, v14, s6
	s_wait_alu 0xfffd
	v_add_co_ci_u32_e32 v17, vcc_lo, s7, v15, vcc_lo
	s_delay_alu instid0(VALU_DEP_2) | instskip(SKIP_1) | instid1(VALU_DEP_2)
	;; [unrolled: 4-line block ×3, first 2 shown]
	v_add_co_u32 v20, vcc_lo, v18, s6
	s_wait_alu 0xfffd
	v_add_co_ci_u32_e32 v21, vcc_lo, s7, v19, vcc_lo
	global_store_b64 v[0:1], v[2:3], off
	global_store_b64 v[14:15], v[4:5], off
	;; [unrolled: 1-line block ×5, first 2 shown]
	global_load_b64 v[0:1], v[72:73], off offset:7488
	ds_load_b64 v[4:5], v93 offset:8840
	s_wait_loadcnt 0x0
	v_mul_f32_e32 v2, v13, v1
	v_mul_f32_e32 v1, v12, v1
	s_delay_alu instid0(VALU_DEP_2) | instskip(NEXT) | instid1(VALU_DEP_2)
	v_fmac_f32_e32 v2, v12, v0
	v_fma_f32 v3, v0, v13, -v1
	s_delay_alu instid0(VALU_DEP_2) | instskip(NEXT) | instid1(VALU_DEP_2)
	v_cvt_f64_f32_e32 v[0:1], v2
	v_cvt_f64_f32_e32 v[2:3], v3
	s_delay_alu instid0(VALU_DEP_2) | instskip(NEXT) | instid1(VALU_DEP_2)
	v_mul_f64_e32 v[0:1], s[2:3], v[0:1]
	v_mul_f64_e32 v[2:3], s[2:3], v[2:3]
	s_delay_alu instid0(VALU_DEP_2) | instskip(NEXT) | instid1(VALU_DEP_2)
	v_cvt_f32_f64_e32 v0, v[0:1]
	v_cvt_f32_f64_e32 v1, v[2:3]
	v_add_co_u32 v2, vcc_lo, v20, s6
	s_wait_alu 0xfffd
	v_add_co_ci_u32_e32 v3, vcc_lo, s7, v21, vcc_lo
	global_store_b64 v[2:3], v[0:1], off
	global_load_b64 v[0:1], v[72:73], off offset:8840
	v_add_co_u32 v2, vcc_lo, v2, s6
	s_wait_alu 0xfffd
	v_add_co_ci_u32_e32 v3, vcc_lo, s7, v3, vcc_lo
	s_wait_loadcnt_dscnt 0x0
	v_mul_f32_e32 v6, v5, v1
	v_mul_f32_e32 v1, v4, v1
	s_delay_alu instid0(VALU_DEP_2) | instskip(NEXT) | instid1(VALU_DEP_2)
	v_fmac_f32_e32 v6, v4, v0
	v_fma_f32 v4, v0, v5, -v1
	s_delay_alu instid0(VALU_DEP_2) | instskip(NEXT) | instid1(VALU_DEP_2)
	v_cvt_f64_f32_e32 v[0:1], v6
	v_cvt_f64_f32_e32 v[4:5], v4
	s_delay_alu instid0(VALU_DEP_2) | instskip(NEXT) | instid1(VALU_DEP_2)
	v_mul_f64_e32 v[0:1], s[2:3], v[0:1]
	v_mul_f64_e32 v[4:5], s[2:3], v[4:5]
	s_delay_alu instid0(VALU_DEP_2) | instskip(NEXT) | instid1(VALU_DEP_2)
	v_cvt_f32_f64_e32 v0, v[0:1]
	v_cvt_f32_f64_e32 v1, v[4:5]
	global_store_b64 v[2:3], v[0:1], off
.LBB0_15:
	s_nop 0
	s_sendmsg sendmsg(MSG_DEALLOC_VGPRS)
	s_endpgm
	.section	.rodata,"a",@progbits
	.p2align	6, 0x0
	.amdhsa_kernel bluestein_single_fwd_len1183_dim1_sp_op_CI_CI
		.amdhsa_group_segment_fixed_size 18928
		.amdhsa_private_segment_fixed_size 0
		.amdhsa_kernarg_size 104
		.amdhsa_user_sgpr_count 2
		.amdhsa_user_sgpr_dispatch_ptr 0
		.amdhsa_user_sgpr_queue_ptr 0
		.amdhsa_user_sgpr_kernarg_segment_ptr 1
		.amdhsa_user_sgpr_dispatch_id 0
		.amdhsa_user_sgpr_private_segment_size 0
		.amdhsa_wavefront_size32 1
		.amdhsa_uses_dynamic_stack 0
		.amdhsa_enable_private_segment 0
		.amdhsa_system_sgpr_workgroup_id_x 1
		.amdhsa_system_sgpr_workgroup_id_y 0
		.amdhsa_system_sgpr_workgroup_id_z 0
		.amdhsa_system_sgpr_workgroup_info 0
		.amdhsa_system_vgpr_workitem_id 0
		.amdhsa_next_free_vgpr 212
		.amdhsa_next_free_sgpr 16
		.amdhsa_reserve_vcc 1
		.amdhsa_float_round_mode_32 0
		.amdhsa_float_round_mode_16_64 0
		.amdhsa_float_denorm_mode_32 3
		.amdhsa_float_denorm_mode_16_64 3
		.amdhsa_fp16_overflow 0
		.amdhsa_workgroup_processor_mode 1
		.amdhsa_memory_ordered 1
		.amdhsa_forward_progress 0
		.amdhsa_round_robin_scheduling 0
		.amdhsa_exception_fp_ieee_invalid_op 0
		.amdhsa_exception_fp_denorm_src 0
		.amdhsa_exception_fp_ieee_div_zero 0
		.amdhsa_exception_fp_ieee_overflow 0
		.amdhsa_exception_fp_ieee_underflow 0
		.amdhsa_exception_fp_ieee_inexact 0
		.amdhsa_exception_int_div_zero 0
	.end_amdhsa_kernel
	.text
.Lfunc_end0:
	.size	bluestein_single_fwd_len1183_dim1_sp_op_CI_CI, .Lfunc_end0-bluestein_single_fwd_len1183_dim1_sp_op_CI_CI
                                        ; -- End function
	.section	.AMDGPU.csdata,"",@progbits
; Kernel info:
; codeLenInByte = 19364
; NumSgprs: 18
; NumVgprs: 212
; ScratchSize: 0
; MemoryBound: 0
; FloatMode: 240
; IeeeMode: 1
; LDSByteSize: 18928 bytes/workgroup (compile time only)
; SGPRBlocks: 2
; VGPRBlocks: 26
; NumSGPRsForWavesPerEU: 18
; NumVGPRsForWavesPerEU: 212
; Occupancy: 7
; WaveLimiterHint : 1
; COMPUTE_PGM_RSRC2:SCRATCH_EN: 0
; COMPUTE_PGM_RSRC2:USER_SGPR: 2
; COMPUTE_PGM_RSRC2:TRAP_HANDLER: 0
; COMPUTE_PGM_RSRC2:TGID_X_EN: 1
; COMPUTE_PGM_RSRC2:TGID_Y_EN: 0
; COMPUTE_PGM_RSRC2:TGID_Z_EN: 0
; COMPUTE_PGM_RSRC2:TIDIG_COMP_CNT: 0
	.text
	.p2alignl 7, 3214868480
	.fill 96, 4, 3214868480
	.type	__hip_cuid_c937dc377ccd9840,@object ; @__hip_cuid_c937dc377ccd9840
	.section	.bss,"aw",@nobits
	.globl	__hip_cuid_c937dc377ccd9840
__hip_cuid_c937dc377ccd9840:
	.byte	0                               ; 0x0
	.size	__hip_cuid_c937dc377ccd9840, 1

	.ident	"AMD clang version 19.0.0git (https://github.com/RadeonOpenCompute/llvm-project roc-6.4.0 25133 c7fe45cf4b819c5991fe208aaa96edf142730f1d)"
	.section	".note.GNU-stack","",@progbits
	.addrsig
	.addrsig_sym __hip_cuid_c937dc377ccd9840
	.amdgpu_metadata
---
amdhsa.kernels:
  - .args:
      - .actual_access:  read_only
        .address_space:  global
        .offset:         0
        .size:           8
        .value_kind:     global_buffer
      - .actual_access:  read_only
        .address_space:  global
        .offset:         8
        .size:           8
        .value_kind:     global_buffer
      - .actual_access:  read_only
        .address_space:  global
        .offset:         16
        .size:           8
        .value_kind:     global_buffer
      - .actual_access:  read_only
        .address_space:  global
        .offset:         24
        .size:           8
        .value_kind:     global_buffer
      - .actual_access:  read_only
        .address_space:  global
        .offset:         32
        .size:           8
        .value_kind:     global_buffer
      - .offset:         40
        .size:           8
        .value_kind:     by_value
      - .address_space:  global
        .offset:         48
        .size:           8
        .value_kind:     global_buffer
      - .address_space:  global
        .offset:         56
        .size:           8
        .value_kind:     global_buffer
      - .address_space:  global
        .offset:         64
        .size:           8
        .value_kind:     global_buffer
      - .address_space:  global
        .offset:         72
        .size:           8
        .value_kind:     global_buffer
      - .offset:         80
        .size:           4
        .value_kind:     by_value
      - .address_space:  global
        .offset:         88
        .size:           8
        .value_kind:     global_buffer
      - .address_space:  global
        .offset:         96
        .size:           8
        .value_kind:     global_buffer
    .group_segment_fixed_size: 18928
    .kernarg_segment_align: 8
    .kernarg_segment_size: 104
    .language:       OpenCL C
    .language_version:
      - 2
      - 0
    .max_flat_workgroup_size: 182
    .name:           bluestein_single_fwd_len1183_dim1_sp_op_CI_CI
    .private_segment_fixed_size: 0
    .sgpr_count:     18
    .sgpr_spill_count: 0
    .symbol:         bluestein_single_fwd_len1183_dim1_sp_op_CI_CI.kd
    .uniform_work_group_size: 1
    .uses_dynamic_stack: false
    .vgpr_count:     212
    .vgpr_spill_count: 0
    .wavefront_size: 32
    .workgroup_processor_mode: 1
amdhsa.target:   amdgcn-amd-amdhsa--gfx1201
amdhsa.version:
  - 1
  - 2
...

	.end_amdgpu_metadata
